;; amdgpu-corpus repo=ROCm/rocFFT kind=compiled arch=gfx906 opt=O3
	.text
	.amdgcn_target "amdgcn-amd-amdhsa--gfx906"
	.amdhsa_code_object_version 6
	.protected	fft_rtc_fwd_len1260_factors_2_2_3_3_5_7_wgs_63_tpt_63_halfLds_dp_op_CI_CI_sbrr_dirReg ; -- Begin function fft_rtc_fwd_len1260_factors_2_2_3_3_5_7_wgs_63_tpt_63_halfLds_dp_op_CI_CI_sbrr_dirReg
	.globl	fft_rtc_fwd_len1260_factors_2_2_3_3_5_7_wgs_63_tpt_63_halfLds_dp_op_CI_CI_sbrr_dirReg
	.p2align	8
	.type	fft_rtc_fwd_len1260_factors_2_2_3_3_5_7_wgs_63_tpt_63_halfLds_dp_op_CI_CI_sbrr_dirReg,@function
fft_rtc_fwd_len1260_factors_2_2_3_3_5_7_wgs_63_tpt_63_halfLds_dp_op_CI_CI_sbrr_dirReg: ; @fft_rtc_fwd_len1260_factors_2_2_3_3_5_7_wgs_63_tpt_63_halfLds_dp_op_CI_CI_sbrr_dirReg
; %bb.0:
	s_load_dwordx4 s[16:19], s[4:5], 0x18
	s_load_dwordx4 s[8:11], s[4:5], 0x0
	;; [unrolled: 1-line block ×3, first 2 shown]
	v_mul_u32_u24_e32 v1, 0x411, v0
	v_add_u32_sdwa v6, s6, v1 dst_sel:DWORD dst_unused:UNUSED_PAD src0_sel:DWORD src1_sel:WORD_1
	s_waitcnt lgkmcnt(0)
	s_load_dwordx2 s[20:21], s[16:17], 0x0
	s_load_dwordx2 s[2:3], s[18:19], 0x0
	v_cmp_lt_u64_e64 s[0:1], s[10:11], 2
	v_mov_b32_e32 v1, 0
	v_mov_b32_e32 v4, 0
	;; [unrolled: 1-line block ×3, first 2 shown]
	s_and_b64 vcc, exec, s[0:1]
	v_mov_b32_e32 v5, 0
	s_cbranch_vccnz .LBB0_8
; %bb.1:
	s_load_dwordx2 s[0:1], s[4:5], 0x10
	s_add_u32 s6, s18, 8
	s_addc_u32 s7, s19, 0
	s_add_u32 s22, s16, 8
	v_mov_b32_e32 v4, 0
	s_addc_u32 s23, s17, 0
	v_mov_b32_e32 v5, 0
	s_waitcnt lgkmcnt(0)
	s_add_u32 s24, s0, 8
	v_mov_b32_e32 v93, v5
	s_addc_u32 s25, s1, 0
	s_mov_b64 s[26:27], 1
	v_mov_b32_e32 v92, v4
.LBB0_2:                                ; =>This Inner Loop Header: Depth=1
	s_load_dwordx2 s[28:29], s[24:25], 0x0
                                        ; implicit-def: $vgpr94_vgpr95
	s_waitcnt lgkmcnt(0)
	v_or_b32_e32 v2, s29, v7
	v_cmp_ne_u64_e32 vcc, 0, v[1:2]
	s_and_saveexec_b64 s[0:1], vcc
	s_xor_b64 s[30:31], exec, s[0:1]
	s_cbranch_execz .LBB0_4
; %bb.3:                                ;   in Loop: Header=BB0_2 Depth=1
	v_cvt_f32_u32_e32 v2, s28
	v_cvt_f32_u32_e32 v3, s29
	s_sub_u32 s0, 0, s28
	s_subb_u32 s1, 0, s29
	v_mac_f32_e32 v2, 0x4f800000, v3
	v_rcp_f32_e32 v2, v2
	v_mul_f32_e32 v2, 0x5f7ffffc, v2
	v_mul_f32_e32 v3, 0x2f800000, v2
	v_trunc_f32_e32 v3, v3
	v_mac_f32_e32 v2, 0xcf800000, v3
	v_cvt_u32_f32_e32 v3, v3
	v_cvt_u32_f32_e32 v2, v2
	v_mul_lo_u32 v8, s0, v3
	v_mul_hi_u32 v9, s0, v2
	v_mul_lo_u32 v11, s1, v2
	v_mul_lo_u32 v10, s0, v2
	v_add_u32_e32 v8, v9, v8
	v_add_u32_e32 v8, v8, v11
	v_mul_hi_u32 v9, v2, v10
	v_mul_lo_u32 v11, v2, v8
	v_mul_hi_u32 v13, v2, v8
	v_mul_hi_u32 v12, v3, v10
	v_mul_lo_u32 v10, v3, v10
	v_mul_hi_u32 v14, v3, v8
	v_add_co_u32_e32 v9, vcc, v9, v11
	v_addc_co_u32_e32 v11, vcc, 0, v13, vcc
	v_mul_lo_u32 v8, v3, v8
	v_add_co_u32_e32 v9, vcc, v9, v10
	v_addc_co_u32_e32 v9, vcc, v11, v12, vcc
	v_addc_co_u32_e32 v10, vcc, 0, v14, vcc
	v_add_co_u32_e32 v8, vcc, v9, v8
	v_addc_co_u32_e32 v9, vcc, 0, v10, vcc
	v_add_co_u32_e32 v2, vcc, v2, v8
	v_addc_co_u32_e32 v3, vcc, v3, v9, vcc
	v_mul_lo_u32 v8, s0, v3
	v_mul_hi_u32 v9, s0, v2
	v_mul_lo_u32 v10, s1, v2
	v_mul_lo_u32 v11, s0, v2
	v_add_u32_e32 v8, v9, v8
	v_add_u32_e32 v8, v8, v10
	v_mul_lo_u32 v12, v2, v8
	v_mul_hi_u32 v13, v2, v11
	v_mul_hi_u32 v14, v2, v8
	;; [unrolled: 1-line block ×3, first 2 shown]
	v_mul_lo_u32 v11, v3, v11
	v_mul_hi_u32 v9, v3, v8
	v_add_co_u32_e32 v12, vcc, v13, v12
	v_addc_co_u32_e32 v13, vcc, 0, v14, vcc
	v_mul_lo_u32 v8, v3, v8
	v_add_co_u32_e32 v11, vcc, v12, v11
	v_addc_co_u32_e32 v10, vcc, v13, v10, vcc
	v_addc_co_u32_e32 v9, vcc, 0, v9, vcc
	v_add_co_u32_e32 v8, vcc, v10, v8
	v_addc_co_u32_e32 v9, vcc, 0, v9, vcc
	v_add_co_u32_e32 v8, vcc, v2, v8
	v_addc_co_u32_e32 v9, vcc, v3, v9, vcc
	v_mad_u64_u32 v[2:3], s[0:1], v6, v9, 0
	v_mul_hi_u32 v10, v6, v8
	v_add_co_u32_e32 v10, vcc, v10, v2
	v_addc_co_u32_e32 v11, vcc, 0, v3, vcc
	v_mad_u64_u32 v[2:3], s[0:1], v7, v8, 0
	v_mad_u64_u32 v[8:9], s[0:1], v7, v9, 0
	v_add_co_u32_e32 v2, vcc, v10, v2
	v_addc_co_u32_e32 v2, vcc, v11, v3, vcc
	v_addc_co_u32_e32 v3, vcc, 0, v9, vcc
	v_add_co_u32_e32 v8, vcc, v2, v8
	v_addc_co_u32_e32 v9, vcc, 0, v3, vcc
	v_mul_lo_u32 v10, s29, v8
	v_mul_lo_u32 v11, s28, v9
	v_mad_u64_u32 v[2:3], s[0:1], s28, v8, 0
	v_add3_u32 v3, v3, v11, v10
	v_sub_u32_e32 v10, v7, v3
	v_mov_b32_e32 v11, s29
	v_sub_co_u32_e32 v2, vcc, v6, v2
	v_subb_co_u32_e64 v10, s[0:1], v10, v11, vcc
	v_subrev_co_u32_e64 v11, s[0:1], s28, v2
	v_subbrev_co_u32_e64 v10, s[0:1], 0, v10, s[0:1]
	v_cmp_le_u32_e64 s[0:1], s29, v10
	v_cndmask_b32_e64 v12, 0, -1, s[0:1]
	v_cmp_le_u32_e64 s[0:1], s28, v11
	v_cndmask_b32_e64 v11, 0, -1, s[0:1]
	v_cmp_eq_u32_e64 s[0:1], s29, v10
	v_cndmask_b32_e64 v10, v12, v11, s[0:1]
	v_add_co_u32_e64 v11, s[0:1], 2, v8
	v_addc_co_u32_e64 v12, s[0:1], 0, v9, s[0:1]
	v_add_co_u32_e64 v13, s[0:1], 1, v8
	v_addc_co_u32_e64 v14, s[0:1], 0, v9, s[0:1]
	v_subb_co_u32_e32 v3, vcc, v7, v3, vcc
	v_cmp_ne_u32_e64 s[0:1], 0, v10
	v_cmp_le_u32_e32 vcc, s29, v3
	v_cndmask_b32_e64 v10, v14, v12, s[0:1]
	v_cndmask_b32_e64 v12, 0, -1, vcc
	v_cmp_le_u32_e32 vcc, s28, v2
	v_cndmask_b32_e64 v2, 0, -1, vcc
	v_cmp_eq_u32_e32 vcc, s29, v3
	v_cndmask_b32_e32 v2, v12, v2, vcc
	v_cmp_ne_u32_e32 vcc, 0, v2
	v_cndmask_b32_e64 v2, v13, v11, s[0:1]
	v_cndmask_b32_e32 v95, v9, v10, vcc
	v_cndmask_b32_e32 v94, v8, v2, vcc
.LBB0_4:                                ;   in Loop: Header=BB0_2 Depth=1
	s_andn2_saveexec_b64 s[0:1], s[30:31]
	s_cbranch_execz .LBB0_6
; %bb.5:                                ;   in Loop: Header=BB0_2 Depth=1
	v_cvt_f32_u32_e32 v2, s28
	s_sub_i32 s30, 0, s28
	v_mov_b32_e32 v95, v1
	v_rcp_iflag_f32_e32 v2, v2
	v_mul_f32_e32 v2, 0x4f7ffffe, v2
	v_cvt_u32_f32_e32 v2, v2
	v_mul_lo_u32 v3, s30, v2
	v_mul_hi_u32 v3, v2, v3
	v_add_u32_e32 v2, v2, v3
	v_mul_hi_u32 v2, v6, v2
	v_mul_lo_u32 v3, v2, s28
	v_add_u32_e32 v8, 1, v2
	v_sub_u32_e32 v3, v6, v3
	v_subrev_u32_e32 v9, s28, v3
	v_cmp_le_u32_e32 vcc, s28, v3
	v_cndmask_b32_e32 v3, v3, v9, vcc
	v_cndmask_b32_e32 v2, v2, v8, vcc
	v_add_u32_e32 v8, 1, v2
	v_cmp_le_u32_e32 vcc, s28, v3
	v_cndmask_b32_e32 v94, v2, v8, vcc
.LBB0_6:                                ;   in Loop: Header=BB0_2 Depth=1
	s_or_b64 exec, exec, s[0:1]
	v_mul_lo_u32 v8, v95, s28
	v_mul_lo_u32 v9, v94, s29
	v_mad_u64_u32 v[2:3], s[0:1], v94, s28, 0
	s_load_dwordx2 s[0:1], s[22:23], 0x0
	s_load_dwordx2 s[28:29], s[6:7], 0x0
	v_add3_u32 v3, v3, v9, v8
	v_sub_co_u32_e32 v2, vcc, v6, v2
	v_subb_co_u32_e32 v3, vcc, v7, v3, vcc
	s_waitcnt lgkmcnt(0)
	v_mul_lo_u32 v6, s0, v3
	v_mul_lo_u32 v7, s1, v2
	v_mad_u64_u32 v[4:5], s[0:1], s0, v2, v[4:5]
	v_mul_lo_u32 v3, s28, v3
	v_mul_lo_u32 v8, s29, v2
	v_mad_u64_u32 v[92:93], s[0:1], s28, v2, v[92:93]
	s_add_u32 s26, s26, 1
	s_addc_u32 s27, s27, 0
	s_add_u32 s6, s6, 8
	v_add3_u32 v93, v8, v93, v3
	s_addc_u32 s7, s7, 0
	v_mov_b32_e32 v2, s10
	s_add_u32 s22, s22, 8
	v_mov_b32_e32 v3, s11
	s_addc_u32 s23, s23, 0
	v_cmp_ge_u64_e32 vcc, s[26:27], v[2:3]
	s_add_u32 s24, s24, 8
	v_add3_u32 v5, v7, v5, v6
	s_addc_u32 s25, s25, 0
	s_cbranch_vccnz .LBB0_9
; %bb.7:                                ;   in Loop: Header=BB0_2 Depth=1
	v_mov_b32_e32 v6, v94
	v_mov_b32_e32 v7, v95
	s_branch .LBB0_2
.LBB0_8:
	v_mov_b32_e32 v93, v5
	v_mov_b32_e32 v95, v7
	;; [unrolled: 1-line block ×4, first 2 shown]
.LBB0_9:
	s_load_dwordx2 s[0:1], s[4:5], 0x28
	s_lshl_b64 s[10:11], s[10:11], 3
	s_add_u32 s4, s18, s10
	s_addc_u32 s5, s19, s11
                                        ; implicit-def: $vgpr134
                                        ; implicit-def: $vgpr136
                                        ; implicit-def: $vgpr135
                                        ; implicit-def: $vgpr137
                                        ; implicit-def: $vgpr139
                                        ; implicit-def: $vgpr140
                                        ; implicit-def: $vgpr141
                                        ; implicit-def: $vgpr96
                                        ; implicit-def: $vgpr97
                                        ; implicit-def: $vgpr98
	s_waitcnt lgkmcnt(0)
	v_cmp_gt_u64_e32 vcc, s[0:1], v[94:95]
	v_cmp_le_u64_e64 s[0:1], s[0:1], v[94:95]
	s_and_saveexec_b64 s[6:7], s[0:1]
	s_xor_b64 s[0:1], exec, s[6:7]
	s_cbranch_execz .LBB0_11
; %bb.10:
	s_mov_b32 s6, 0x4104105
	v_mul_hi_u32 v1, v0, s6
                                        ; implicit-def: $vgpr4_vgpr5
	v_mul_u32_u24_e32 v1, 63, v1
	v_sub_u32_e32 v134, v0, v1
	v_add_u32_e32 v136, 63, v134
	v_add_u32_e32 v135, 0x7e, v134
	;; [unrolled: 1-line block ×9, first 2 shown]
                                        ; implicit-def: $vgpr0
.LBB0_11:
	s_or_saveexec_b64 s[6:7], s[0:1]
                                        ; implicit-def: $vgpr80_vgpr81
                                        ; implicit-def: $vgpr52_vgpr53
                                        ; implicit-def: $vgpr76_vgpr77
                                        ; implicit-def: $vgpr12_vgpr13
                                        ; implicit-def: $vgpr44_vgpr45
                                        ; implicit-def: $vgpr16_vgpr17
                                        ; implicit-def: $vgpr48_vgpr49
                                        ; implicit-def: $vgpr20_vgpr21
                                        ; implicit-def: $vgpr56_vgpr57
                                        ; implicit-def: $vgpr24_vgpr25
                                        ; implicit-def: $vgpr60_vgpr61
                                        ; implicit-def: $vgpr30_vgpr31
                                        ; implicit-def: $vgpr64_vgpr65
                                        ; implicit-def: $vgpr34_vgpr35
                                        ; implicit-def: $vgpr68_vgpr69
                                        ; implicit-def: $vgpr38_vgpr39
                                        ; implicit-def: $vgpr2_vgpr3
                                        ; implicit-def: $vgpr72_vgpr73
                                        ; implicit-def: $vgpr84_vgpr85
                                        ; implicit-def: $vgpr6_vgpr7
	s_xor_b64 exec, exec, s[6:7]
	s_cbranch_execz .LBB0_13
; %bb.12:
	s_add_u32 s0, s16, s10
	s_mov_b32 s10, 0x4104105
	s_addc_u32 s1, s17, s11
	v_mul_hi_u32 v1, v0, s10
	s_load_dwordx2 s[0:1], s[0:1], 0x0
	v_mul_u32_u24_e32 v1, 63, v1
	v_sub_u32_e32 v134, v0, v1
	s_waitcnt lgkmcnt(0)
	v_mul_lo_u32 v8, s1, v94
	v_mad_u64_u32 v[0:1], s[10:11], s20, v134, 0
	v_mul_lo_u32 v9, s0, v95
	v_mad_u64_u32 v[2:3], s[0:1], s0, v94, 0
	v_add_u32_e32 v136, 63, v134
	v_add_u32_e32 v10, 0x2b5, v134
	v_mad_u64_u32 v[6:7], s[0:1], s21, v134, v[1:2]
	v_add3_u32 v3, v3, v9, v8
	v_lshlrev_b64 v[2:3], 4, v[2:3]
	v_mov_b32_e32 v1, v6
	v_mov_b32_e32 v6, s13
	v_add_co_u32_e64 v7, s[0:1], s12, v2
	v_add_u32_e32 v8, 0x276, v134
	v_addc_co_u32_e64 v6, s[0:1], v6, v3, s[0:1]
	v_lshlrev_b64 v[2:3], 4, v[4:5]
	v_mad_u64_u32 v[4:5], s[0:1], s20, v8, 0
	v_add_co_u32_e64 v13, s[0:1], v7, v2
	v_mov_b32_e32 v2, v5
	v_addc_co_u32_e64 v14, s[0:1], v6, v3, s[0:1]
	v_mad_u64_u32 v[2:3], s[0:1], s21, v8, v[2:3]
	v_mad_u64_u32 v[6:7], s[0:1], s20, v136, 0
	v_lshlrev_b64 v[0:1], 4, v[0:1]
	v_mov_b32_e32 v5, v2
	v_add_co_u32_e64 v0, s[0:1], v13, v0
	v_lshlrev_b64 v[2:3], 4, v[4:5]
	v_mov_b32_e32 v4, v7
	v_addc_co_u32_e64 v1, s[0:1], v14, v1, s[0:1]
	v_mad_u64_u32 v[4:5], s[0:1], s21, v136, v[4:5]
	v_mad_u64_u32 v[8:9], s[0:1], s20, v10, 0
	v_mov_b32_e32 v7, v4
	v_add_co_u32_e64 v2, s[0:1], v13, v2
	v_lshlrev_b64 v[4:5], 4, v[6:7]
	v_mov_b32_e32 v6, v9
	v_add_u32_e32 v135, 0x7e, v134
	v_addc_co_u32_e64 v3, s[0:1], v14, v3, s[0:1]
	v_mad_u64_u32 v[6:7], s[0:1], s21, v10, v[6:7]
	v_mad_u64_u32 v[10:11], s[0:1], s20, v135, 0
	v_add_co_u32_e64 v26, s[0:1], v13, v4
	v_mov_b32_e32 v9, v6
	v_mov_b32_e32 v6, v11
	v_addc_co_u32_e64 v27, s[0:1], v14, v5, s[0:1]
	v_lshlrev_b64 v[4:5], 4, v[8:9]
	v_mad_u64_u32 v[6:7], s[0:1], s21, v135, v[6:7]
	v_add_u32_e32 v9, 0x2f4, v134
	v_mad_u64_u32 v[7:8], s[0:1], s20, v9, 0
	v_add_co_u32_e64 v40, s[0:1], v13, v4
	v_mov_b32_e32 v11, v6
	v_mov_b32_e32 v6, v8
	v_addc_co_u32_e64 v41, s[0:1], v14, v5, s[0:1]
	v_mad_u64_u32 v[8:9], s[0:1], s21, v9, v[6:7]
	v_add_u32_e32 v137, 0xbd, v134
	v_lshlrev_b64 v[4:5], 4, v[10:11]
	v_mad_u64_u32 v[9:10], s[0:1], s20, v137, 0
	v_add_co_u32_e64 v50, s[0:1], v13, v4
	v_mov_b32_e32 v6, v10
	v_addc_co_u32_e64 v51, s[0:1], v14, v5, s[0:1]
	v_lshlrev_b64 v[4:5], 4, v[7:8]
	v_mad_u64_u32 v[6:7], s[0:1], s21, v137, v[6:7]
	v_add_u32_e32 v11, 0x333, v134
	v_mad_u64_u32 v[7:8], s[0:1], s20, v11, 0
	v_add_co_u32_e64 v52, s[0:1], v13, v4
	v_mov_b32_e32 v10, v6
	v_mov_b32_e32 v6, v8
	v_addc_co_u32_e64 v53, s[0:1], v14, v5, s[0:1]
	v_lshlrev_b64 v[4:5], 4, v[9:10]
	v_mad_u64_u32 v[8:9], s[0:1], s21, v11, v[6:7]
	v_add_u32_e32 v139, 0xfc, v134
	v_mad_u64_u32 v[9:10], s[0:1], s20, v139, 0
	v_add_co_u32_e64 v74, s[0:1], v13, v4
	v_mov_b32_e32 v6, v10
	v_addc_co_u32_e64 v75, s[0:1], v14, v5, s[0:1]
	v_lshlrev_b64 v[4:5], 4, v[7:8]
	v_mad_u64_u32 v[6:7], s[0:1], s21, v139, v[6:7]
	v_add_u32_e32 v11, 0x372, v134
	v_mad_u64_u32 v[7:8], s[0:1], s20, v11, 0
	v_add_co_u32_e64 v76, s[0:1], v13, v4
	v_mov_b32_e32 v10, v6
	v_mov_b32_e32 v6, v8
	v_addc_co_u32_e64 v77, s[0:1], v14, v5, s[0:1]
	v_lshlrev_b64 v[4:5], 4, v[9:10]
	v_mad_u64_u32 v[8:9], s[0:1], s21, v11, v[6:7]
	v_add_u32_e32 v140, 0x13b, v134
	;; [unrolled: 15-line block ×6, first 2 shown]
	v_mad_u64_u32 v[9:10], s[0:1], s20, v98, 0
	v_add_co_u32_e64 v105, s[0:1], v13, v4
	v_mov_b32_e32 v6, v10
	v_addc_co_u32_e64 v106, s[0:1], v14, v5, s[0:1]
	v_lshlrev_b64 v[4:5], 4, v[7:8]
	v_mad_u64_u32 v[6:7], s[0:1], s21, v98, v[6:7]
	v_add_u32_e32 v7, 0x4ad, v134
	v_mad_u64_u32 v[11:12], s[0:1], s20, v7, 0
	v_add_co_u32_e64 v107, s[0:1], v13, v4
	v_mov_b32_e32 v10, v6
	v_mov_b32_e32 v6, v12
	v_addc_co_u32_e64 v108, s[0:1], v14, v5, s[0:1]
	v_lshlrev_b64 v[4:5], 4, v[9:10]
	v_mad_u64_u32 v[8:9], s[0:1], s21, v7, v[6:7]
	v_add_co_u32_e64 v109, s[0:1], v13, v4
	v_mov_b32_e32 v12, v8
	v_addc_co_u32_e64 v110, s[0:1], v14, v5, s[0:1]
	global_load_dwordx4 v[4:7], v[0:1], off
	global_load_dwordx4 v[82:85], v[2:3], off
	v_lshlrev_b64 v[0:1], 4, v[11:12]
	v_add_co_u32_e64 v8, s[0:1], v13, v0
	v_addc_co_u32_e64 v9, s[0:1], v14, v1, s[0:1]
	global_load_dwordx4 v[70:73], v[26:27], off
	global_load_dwordx4 v[0:3], v[40:41], off
	;; [unrolled: 1-line block ×15, first 2 shown]
                                        ; kill: killed $vgpr76 killed $vgpr77
                                        ; kill: killed $vgpr105 killed $vgpr106
                                        ; kill: killed $vgpr50 killed $vgpr51
                                        ; kill: killed $vgpr52 killed $vgpr53
                                        ; kill: killed $vgpr101 killed $vgpr102
                                        ; kill: killed $vgpr26 killed $vgpr27
                                        ; kill: killed $vgpr103 killed $vgpr104
                                        ; kill: killed $vgpr40 killed $vgpr41
                                        ; kill: killed $vgpr90 killed $vgpr91
                                        ; kill: killed $vgpr99 killed $vgpr100
                                        ; kill: killed $vgpr86 killed $vgpr87
                                        ; kill: killed $vgpr88 killed $vgpr89
                                        ; kill: killed $vgpr78 killed $vgpr79
                                        ; kill: killed $vgpr80 killed $vgpr81
                                        ; kill: killed $vgpr74 killed $vgpr75
	global_load_dwordx4 v[74:77], v[107:108], off
	global_load_dwordx4 v[50:53], v[109:110], off
	;; [unrolled: 1-line block ×3, first 2 shown]
.LBB0_13:
	s_or_b64 exec, exec, s[6:7]
	s_waitcnt vmcnt(18)
	v_add_f64 v[86:87], v[4:5], -v[82:83]
	s_waitcnt vmcnt(16)
	v_add_f64 v[90:91], v[70:71], -v[0:1]
	v_add_f64 v[101:102], v[6:7], -v[84:85]
	s_waitcnt vmcnt(14)
	v_add_f64 v[105:106], v[36:37], -v[66:67]
	s_waitcnt vmcnt(6)
	v_add_f64 v[115:116], v[18:19], -v[46:47]
	v_lshl_add_u32 v46, v134, 4, 0
	v_add_f64 v[8:9], v[32:33], -v[62:63]
	v_add_f64 v[107:108], v[28:29], -v[58:59]
	v_fma_f64 v[84:85], v[4:5], 2.0, -v[86:87]
	v_fma_f64 v[88:89], v[70:71], 2.0, -v[90:91]
	v_add_f64 v[111:112], v[22:23], -v[54:55]
	s_waitcnt vmcnt(4)
	v_add_f64 v[42:43], v[14:15], -v[42:43]
	v_fma_f64 v[103:104], v[36:37], 2.0, -v[105:106]
	v_lshl_add_u32 v130, v136, 4, 0
	v_lshl_add_u32 v131, v135, 4, 0
	v_fma_f64 v[99:100], v[6:7], 2.0, -v[101:102]
	ds_write_b128 v46, v[84:87]
	ds_write_b128 v130, v[88:91]
	s_waitcnt vmcnt(2)
	v_add_f64 v[84:85], v[10:11], -v[74:75]
	s_waitcnt vmcnt(0)
	v_add_f64 v[88:89], v[50:51], -v[78:79]
	v_fma_f64 v[6:7], v[32:33], 2.0, -v[8:9]
	ds_write_b128 v131, v[103:106]
	v_fma_f64 v[105:106], v[28:29], 2.0, -v[107:108]
	v_fma_f64 v[109:110], v[22:23], 2.0, -v[111:112]
	v_fma_f64 v[113:114], v[18:19], 2.0, -v[115:116]
	v_fma_f64 v[40:41], v[14:15], 2.0, -v[42:43]
	v_fma_f64 v[82:83], v[10:11], 2.0, -v[84:85]
	v_fma_f64 v[86:87], v[50:51], 2.0, -v[88:89]
	v_lshlrev_b32_e32 v0, 3, v134
	v_lshl_add_u32 v132, v137, 4, 0
	v_lshl_add_u32 v133, v139, 4, 0
	;; [unrolled: 1-line block ×6, first 2 shown]
	v_sub_u32_e32 v138, v46, v0
	v_lshlrev_b32_e32 v0, 3, v96
	ds_write_b128 v132, v[6:9]
	ds_write_b128 v133, v[105:108]
	;; [unrolled: 1-line block ×6, first 2 shown]
	v_lshl_add_u32 v63, v98, 4, 0
	v_lshlrev_b32_e32 v165, 3, v136
	v_lshlrev_b32_e32 v166, 3, v135
	v_add_u32_e32 v82, 0x1400, v138
	v_lshlrev_b32_e32 v112, 3, v137
	v_lshlrev_b32_e32 v113, 3, v139
	;; [unrolled: 1-line block ×4, first 2 shown]
	v_sub_u32_e32 v83, v62, v0
	v_lshlrev_b32_e32 v146, 3, v97
	v_lshlrev_b32_e32 v0, 3, v98
	v_add_f64 v[74:75], v[72:73], -v[2:3]
	s_load_dwordx2 s[4:5], s[4:5], 0x0
	ds_write_b128 v63, v[86:89]
	s_waitcnt lgkmcnt(0)
	; wave barrier
	s_waitcnt lgkmcnt(0)
	v_add_u32_e32 v150, 0x1000, v138
	v_sub_u32_e32 v19, v130, v165
	v_sub_u32_e32 v167, v131, v166
	;; [unrolled: 1-line block ×4, first 2 shown]
	v_add_u32_e32 v142, 0x1800, v138
	v_sub_u32_e32 v171, v149, v170
	v_sub_u32_e32 v84, v18, v148
	v_add_u32_e32 v145, 0x1c00, v138
	v_sub_u32_e32 v85, v144, v146
	v_sub_u32_e32 v86, v63, v0
	v_add_u32_e32 v151, 0x2000, v138
	ds_read_b64 v[78:79], v138
	ds_read_b64 v[103:104], v19
	;; [unrolled: 1-line block ×10, first 2 shown]
	ds_read2_b64 v[4:7], v150 offset0:118 offset1:181
	ds_read2_b64 v[40:43], v82 offset0:116 offset1:179
	ds_read2_b64 v[26:29], v142 offset0:114 offset1:177
	ds_read2_b64 v[8:11], v145 offset0:112 offset1:175
	ds_read2_b64 v[0:3], v151 offset0:110 offset1:173
	s_waitcnt lgkmcnt(0)
	; wave barrier
	s_waitcnt lgkmcnt(0)
	ds_write_b128 v46, v[99:102]
	v_add_f64 v[46:47], v[38:39], -v[68:69]
	v_add_f64 v[36:37], v[34:35], -v[64:65]
	;; [unrolled: 1-line block ×7, first 2 shown]
	v_fma_f64 v[72:73], v[72:73], 2.0, -v[74:75]
	v_add_f64 v[60:61], v[52:53], -v[80:81]
	v_fma_f64 v[44:45], v[38:39], 2.0, -v[46:47]
	v_fma_f64 v[34:35], v[34:35], 2.0, -v[36:37]
	;; [unrolled: 1-line block ×8, first 2 shown]
	ds_write_b128 v130, v[72:75]
	ds_write_b128 v131, v[44:47]
	;; [unrolled: 1-line block ×9, first 2 shown]
	v_and_b32_e32 v48, 1, v134
	v_lshlrev_b32_e32 v12, 4, v48
	s_waitcnt lgkmcnt(0)
	; wave barrier
	s_waitcnt lgkmcnt(0)
	global_load_dwordx4 v[12:15], v12, s[8:9]
	v_and_b32_e32 v44, 1, v136
	v_lshlrev_b32_e32 v16, 4, v44
	global_load_dwordx4 v[30:33], v16, s[8:9]
	v_and_b32_e32 v46, 1, v137
	v_lshlrev_b32_e32 v16, 4, v46
	global_load_dwordx4 v[64:67], v16, s[8:9]
	v_and_b32_e32 v50, 1, v98
	v_and_b32_e32 v47, 1, v140
	v_lshlrev_b32_e32 v20, 4, v50
	global_load_dwordx4 v[68:71], v20, s[8:9]
	v_lshlrev_b32_e32 v16, 4, v47
	global_load_dwordx4 v[56:59], v16, s[8:9]
	v_and_b32_e32 v49, 1, v96
	v_lshlrev_b32_e32 v16, 4, v49
	global_load_dwordx4 v[60:63], v16, s[8:9]
	ds_read2_b64 v[72:75], v150 offset0:118 offset1:181
	ds_read_b64 v[126:127], v138
	ds_read_b64 v[128:129], v19
	;; [unrolled: 1-line block ×8, first 2 shown]
	ds_read2_b64 v[80:83], v82 offset0:116 offset1:179
	s_movk_i32 s0, 0x7c
	v_lshlrev_b32_e32 v45, 1, v134
	v_and_or_b32 v45, v45, s0, v48
	v_lshl_add_u32 v143, v45, 3, 0
	s_movk_i32 s0, 0xfc
	v_lshlrev_b32_e32 v45, 1, v136
	v_and_or_b32 v44, v45, s0, v44
	v_lshl_add_u32 v147, v44, 3, 0
	s_movk_i32 s0, 0x1fc
	s_movk_i32 s1, 0x2fc
	s_waitcnt vmcnt(5) lgkmcnt(9)
	v_mul_f64 v[16:17], v[72:73], v[14:15]
	s_waitcnt lgkmcnt(0)
	v_mul_f64 v[34:35], v[80:81], v[14:15]
	s_waitcnt vmcnt(4)
	v_mul_f64 v[20:21], v[74:75], v[32:33]
	s_waitcnt vmcnt(3)
	v_mul_f64 v[36:37], v[82:83], v[66:67]
	v_fma_f64 v[16:17], v[4:5], v[12:13], -v[16:17]
	v_fma_f64 v[34:35], v[40:41], v[12:13], -v[34:35]
	v_fma_f64 v[20:21], v[6:7], v[30:31], -v[20:21]
	v_add_f64 v[16:17], v[78:79], -v[16:17]
	v_add_f64 v[34:35], v[105:106], -v[34:35]
	;; [unrolled: 1-line block ×3, first 2 shown]
	v_fma_f64 v[22:23], v[78:79], 2.0, -v[16:17]
	ds_read_b64 v[122:123], v84
	ds_read_b64 v[124:125], v171
	ds_read2_b64 v[76:79], v142 offset0:114 offset1:177
	ds_read2_b64 v[88:91], v145 offset0:112 offset1:175
	ds_read2_b64 v[84:87], v151 offset0:110 offset1:173
	s_waitcnt lgkmcnt(0)
	; wave barrier
	s_waitcnt lgkmcnt(0)
	ds_write2_b64 v143, v[22:23], v[16:17] offset1:2
	v_fma_f64 v[16:17], v[103:104], 2.0, -v[20:21]
	v_fma_f64 v[22:23], v[42:43], v[64:65], -v[36:37]
	v_mul_f64 v[36:37], v[76:77], v[14:15]
	ds_write2_b64 v147, v[16:17], v[20:21] offset1:2
	v_add_f64 v[16:17], v[107:108], -v[22:23]
	v_fma_f64 v[20:21], v[26:27], v[12:13], -v[36:37]
	v_fma_f64 v[22:23], v[105:106], 2.0, -v[34:35]
	v_lshlrev_b32_e32 v36, 1, v135
	v_and_or_b32 v44, v36, s0, v48
	s_waitcnt vmcnt(1)
	v_mul_f64 v[36:37], v[78:79], v[58:59]
	v_lshl_add_u32 v152, v44, 3, 0
	v_fma_f64 v[44:45], v[107:108], 2.0, -v[16:17]
	v_add_f64 v[20:21], v[109:110], -v[20:21]
	ds_write2_b64 v152, v[22:23], v[34:35] offset1:2
	v_lshlrev_b32_e32 v22, 1, v137
	v_and_or_b32 v46, v22, s0, v46
	v_mul_f64 v[22:23], v[88:89], v[14:15]
	v_fma_f64 v[34:35], v[28:29], v[56:57], -v[36:37]
	v_lshl_add_u32 v153, v46, 3, 0
	ds_write2_b64 v153, v[44:45], v[16:17] offset1:2
	v_fma_f64 v[16:17], v[109:110], 2.0, -v[20:21]
	s_movk_i32 s0, 0x3fc
	v_lshlrev_b32_e32 v44, 1, v139
	s_waitcnt vmcnt(0)
	v_mul_f64 v[36:37], v[90:91], v[62:63]
	v_fma_f64 v[22:23], v[8:9], v[12:13], -v[22:23]
	v_add_f64 v[34:35], v[155:156], -v[34:35]
	v_and_or_b32 v46, v44, s0, v48
	v_mul_f64 v[44:45], v[84:85], v[14:15]
	v_lshl_add_u32 v154, v46, 3, 0
	ds_write2_b64 v154, v[16:17], v[20:21] offset1:2
	v_lshlrev_b32_e32 v46, 1, v140
	v_fma_f64 v[16:17], v[10:11], v[60:61], -v[36:37]
	v_add_f64 v[20:21], v[157:158], -v[22:23]
	v_fma_f64 v[22:23], v[155:156], 2.0, -v[34:35]
	v_and_or_b32 v46, v46, s1, v47
	v_fma_f64 v[36:37], v[0:1], v[12:13], -v[44:45]
	v_mul_f64 v[44:45], v[86:87], v[70:71]
	v_lshl_add_u32 v155, v46, 3, 0
	v_add_f64 v[16:17], v[159:160], -v[16:17]
	v_fma_f64 v[46:47], v[157:158], 2.0, -v[20:21]
	ds_write2_b64 v155, v[22:23], v[34:35] offset1:2
	v_lshlrev_b32_e32 v34, 1, v141
	v_and_or_b32 v51, v34, s0, v48
	v_fma_f64 v[34:35], v[2:3], v[68:69], -v[44:45]
	v_add_f64 v[22:23], v[161:162], -v[36:37]
	v_lshl_add_u32 v156, v51, 3, 0
	v_fma_f64 v[36:37], v[159:160], 2.0, -v[16:17]
	ds_write2_b64 v156, v[46:47], v[20:21] offset1:2
	v_lshlrev_b32_e32 v20, 1, v96
	v_and_or_b32 v44, v20, s0, v49
	v_lshl_add_u32 v157, v44, 3, 0
	v_add_f64 v[110:111], v[163:164], -v[34:35]
	v_fma_f64 v[20:21], v[161:162], 2.0, -v[22:23]
	s_movk_i32 s0, 0x7fc
	ds_write2_b64 v157, v[36:37], v[16:17] offset1:2
	v_lshlrev_b32_e32 v16, 1, v97
	v_and_or_b32 v16, v16, s0, v48
	v_lshl_add_u32 v160, v16, 3, 0
	v_lshlrev_b32_e32 v16, 1, v98
	v_fma_f64 v[96:97], v[163:164], 2.0, -v[110:111]
	s_movk_i32 s0, 0x4fc
	v_and_or_b32 v16, v16, s0, v50
	v_sub_u32_e32 v17, 0, v148
	v_lshl_add_u32 v161, v16, 3, 0
	ds_write2_b64 v160, v[20:21], v[22:23] offset1:2
	v_add_u32_e32 v148, v18, v17
	v_add_u32_e32 v163, 0x800, v138
	ds_write2_b64 v161, v[96:97], v[110:111] offset1:2
	s_waitcnt lgkmcnt(0)
	; wave barrier
	s_waitcnt lgkmcnt(0)
	ds_read_b64 v[104:105], v167
	ds_read_b64 v[102:103], v168
	;; [unrolled: 1-line block ×6, first 2 shown]
	ds_read2_b64 v[52:55], v163 offset0:164 offset1:227
	ds_read2_b64 v[48:51], v142 offset0:72 offset1:135
	;; [unrolled: 1-line block ×6, first 2 shown]
	v_sub_u32_e32 v159, 0, v165
	v_sub_u32_e32 v158, 0, v166
	;; [unrolled: 1-line block ×5, first 2 shown]
	v_cmp_gt_u32_e64 s[0:1], 42, v134
                                        ; implicit-def: $vgpr112_vgpr113
	s_and_saveexec_b64 s[6:7], s[0:1]
	s_cbranch_execz .LBB0_15
; %bb.14:
	ds_read_b64 v[110:111], v138 offset:6384
	ds_read_b64 v[96:97], v148
	ds_read_b64 v[112:113], v138 offset:9744
.LBB0_15:
	s_or_b64 exec, exec, s[6:7]
	v_mul_f64 v[4:5], v[4:5], v[14:15]
	v_mul_f64 v[6:7], v[6:7], v[32:33]
	;; [unrolled: 1-line block ×9, first 2 shown]
	v_fma_f64 v[4:5], v[72:73], v[12:13], v[4:5]
	v_mul_f64 v[0:1], v[0:1], v[14:15]
	v_fma_f64 v[6:7], v[74:75], v[30:31], v[6:7]
	v_fma_f64 v[14:15], v[80:81], v[12:13], v[32:33]
	;; [unrolled: 1-line block ×8, first 2 shown]
	v_add_f64 v[4:5], v[126:127], -v[4:5]
	v_fma_f64 v[0:1], v[84:85], v[12:13], v[0:1]
	v_add_f64 v[6:7], v[128:129], -v[6:7]
	v_add_f64 v[12:13], v[116:117], -v[14:15]
	;; [unrolled: 1-line block ×8, first 2 shown]
	v_fma_f64 v[14:15], v[126:127], 2.0, -v[4:5]
	v_add_f64 v[0:1], v[38:39], -v[0:1]
	v_fma_f64 v[40:41], v[128:129], 2.0, -v[6:7]
	v_fma_f64 v[2:3], v[116:117], 2.0, -v[12:13]
	v_fma_f64 v[42:43], v[118:119], 2.0, -v[30:31]
	v_fma_f64 v[58:59], v[120:121], 2.0, -v[26:27]
	v_fma_f64 v[60:61], v[124:125], 2.0, -v[28:29]
	v_fma_f64 v[62:63], v[122:123], 2.0, -v[8:9]
	v_fma_f64 v[24:25], v[24:25], 2.0, -v[10:11]
	v_fma_f64 v[32:33], v[114:115], 2.0, -v[56:57]
	v_fma_f64 v[38:39], v[38:39], 2.0, -v[0:1]
	s_waitcnt lgkmcnt(0)
	; wave barrier
	s_waitcnt lgkmcnt(0)
	ds_write2_b64 v143, v[14:15], v[4:5] offset1:2
	ds_write2_b64 v147, v[40:41], v[6:7] offset1:2
	;; [unrolled: 1-line block ×10, first 2 shown]
	s_waitcnt lgkmcnt(0)
	; wave barrier
	s_waitcnt lgkmcnt(0)
	ds_read2_b64 v[28:31], v163 offset0:164 offset1:227
	ds_read2_b64 v[24:27], v142 offset0:72 offset1:135
	v_add_u32_e32 v143, v130, v159
	v_add_u32_e32 v142, v131, v158
	ds_read2_b64 v[4:7], v150 offset0:34 offset1:97
	ds_read2_b64 v[0:3], v145 offset0:70 offset1:133
	v_add_u32_e32 v145, v132, v165
	ds_read_b64 v[70:71], v138
	ds_read_b64 v[66:67], v143
	;; [unrolled: 1-line block ×4, first 2 shown]
	v_add_u32_e32 v147, v133, v164
	ds_read2_b64 v[12:15], v150 offset0:160 offset1:223
	ds_read2_b64 v[8:11], v151 offset0:68 offset1:131
	v_add_u32_e32 v149, v149, v162
	ds_read_b64 v[40:41], v147
	ds_read_b64 v[38:39], v149
                                        ; implicit-def: $vgpr58_vgpr59
	s_and_saveexec_b64 s[6:7], s[0:1]
	s_cbranch_execz .LBB0_17
; %bb.16:
	ds_read_b64 v[56:57], v138 offset:6384
	ds_read_b64 v[32:33], v148
	ds_read_b64 v[58:59], v138 offset:9744
.LBB0_17:
	s_or_b64 exec, exec, s[6:7]
	v_and_b32_e32 v199, 3, v134
	v_lshlrev_b32_e32 v68, 5, v199
	global_load_dwordx4 v[60:63], v68, s[8:9] offset:32
	global_load_dwordx4 v[72:75], v68, s[8:9] offset:48
	v_and_b32_e32 v200, 3, v136
	v_lshlrev_b32_e32 v68, 5, v200
	v_and_b32_e32 v201, 3, v135
	global_load_dwordx4 v[76:79], v68, s[8:9] offset:32
	global_load_dwordx4 v[80:83], v68, s[8:9] offset:48
	v_lshlrev_b32_e32 v68, 5, v201
	v_and_b32_e32 v202, 3, v137
	global_load_dwordx4 v[86:89], v68, s[8:9] offset:32
	global_load_dwordx4 v[114:117], v68, s[8:9] offset:48
	v_lshlrev_b32_e32 v68, 5, v202
	global_load_dwordx4 v[118:121], v68, s[8:9] offset:32
	global_load_dwordx4 v[151:154], v68, s[8:9] offset:48
	v_and_b32_e32 v203, 3, v140
	v_lshlrev_b32_e32 v68, 5, v203
	v_and_b32_e32 v150, 3, v141
	global_load_dwordx4 v[155:158], v68, s[8:9] offset:32
	global_load_dwordx4 v[159:162], v68, s[8:9] offset:48
	v_lshlrev_b32_e32 v68, 5, v150
	global_load_dwordx4 v[163:166], v68, s[8:9] offset:32
	global_load_dwordx4 v[167:170], v68, s[8:9] offset:48
	s_mov_b32 s6, 0xe8584caa
	s_mov_b32 s7, 0x3febb67a
	;; [unrolled: 1-line block ×4, first 2 shown]
	s_waitcnt lgkmcnt(0)
	; wave barrier
	s_waitcnt vmcnt(11) lgkmcnt(0)
	v_mul_f64 v[68:69], v[28:29], v[62:63]
	s_waitcnt vmcnt(10)
	v_mul_f64 v[90:91], v[24:25], v[74:75]
	v_mul_f64 v[84:85], v[52:53], v[62:63]
	;; [unrolled: 1-line block ×3, first 2 shown]
	s_waitcnt vmcnt(9)
	v_mul_f64 v[124:125], v[30:31], v[78:79]
	v_mul_f64 v[78:79], v[54:55], v[78:79]
	s_waitcnt vmcnt(8)
	v_mul_f64 v[171:172], v[26:27], v[82:83]
	v_mul_f64 v[82:83], v[50:51], v[82:83]
	s_waitcnt vmcnt(6)
	v_mul_f64 v[177:178], v[0:1], v[116:117]
	v_mul_f64 v[179:180], v[34:35], v[116:117]
	s_waitcnt vmcnt(4)
	v_mul_f64 v[185:186], v[2:3], v[153:154]
	v_mul_f64 v[189:190], v[8:9], v[74:75]
	v_mul_f64 v[122:123], v[48:49], v[74:75]
	v_mul_f64 v[173:174], v[4:5], v[88:89]
	s_waitcnt vmcnt(3)
	v_mul_f64 v[191:192], v[14:15], v[157:158]
	s_waitcnt vmcnt(2)
	;; [unrolled: 2-line block ×4, first 2 shown]
	v_mul_f64 v[197:198], v[58:59], v[169:170]
	v_mul_f64 v[153:154], v[36:37], v[153:154]
	v_fma_f64 v[128:129], v[52:53], v[60:61], -v[68:69]
	v_fma_f64 v[130:131], v[48:49], v[72:73], -v[90:91]
	v_mul_f64 v[175:176], v[44:45], v[88:89]
	v_mul_f64 v[181:182], v[6:7], v[120:121]
	v_mul_f64 v[62:63], v[20:21], v[62:63]
	v_mul_f64 v[74:75], v[16:17], v[74:75]
	v_fma_f64 v[132:133], v[28:29], v[60:61], v[84:85]
	v_fma_f64 v[126:127], v[30:31], v[76:77], v[78:79]
	;; [unrolled: 1-line block ×3, first 2 shown]
	v_fma_f64 v[116:117], v[34:35], v[114:115], -v[177:178]
	v_fma_f64 v[82:83], v[0:1], v[114:115], v[179:180]
	v_fma_f64 v[114:115], v[36:37], v[151:152], -v[185:186]
	v_fma_f64 v[30:31], v[20:21], v[60:61], -v[187:188]
	;; [unrolled: 1-line block ×3, first 2 shown]
	v_mul_f64 v[157:158], v[22:23], v[157:158]
	v_mul_f64 v[161:162], v[18:19], v[161:162]
	;; [unrolled: 1-line block ×4, first 2 shown]
	v_fma_f64 v[88:89], v[24:25], v[72:73], v[122:123]
	v_fma_f64 v[122:123], v[54:55], v[76:77], -v[124:125]
	v_fma_f64 v[124:125], v[50:51], v[80:81], -v[171:172]
	;; [unrolled: 1-line block ×7, first 2 shown]
	v_fma_f64 v[80:81], v[2:3], v[151:152], v[153:154]
	v_add_f64 v[2:3], v[128:129], v[130:131]
	v_mul_f64 v[183:184], v[46:47], v[120:121]
	v_fma_f64 v[120:121], v[4:5], v[86:87], v[175:176]
	v_fma_f64 v[86:87], v[46:47], v[118:119], -v[181:182]
	v_fma_f64 v[46:47], v[12:13], v[60:61], v[62:63]
	v_fma_f64 v[24:25], v[8:9], v[72:73], v[74:75]
	v_add_f64 v[48:49], v[30:31], v[36:37]
	v_fma_f64 v[72:73], v[14:15], v[155:156], v[157:158]
	v_fma_f64 v[26:27], v[10:11], v[159:160], v[161:162]
	v_fma_f64 v[78:79], v[56:57], v[163:164], v[165:166]
	v_fma_f64 v[28:29], v[58:59], v[167:168], v[169:170]
	v_add_f64 v[52:53], v[34:35], v[50:51]
	v_add_f64 v[54:55], v[44:45], v[76:77]
	;; [unrolled: 1-line block ×3, first 2 shown]
	v_add_f64 v[4:5], v[132:133], -v[88:89]
	v_fma_f64 v[2:3], v[2:3], -0.5, v[108:109]
	v_add_f64 v[20:21], v[86:87], v[114:115]
	v_fma_f64 v[48:49], v[48:49], -0.5, v[100:101]
	v_add_f64 v[58:59], v[46:47], -v[24:25]
	v_add_f64 v[68:69], v[96:97], v[44:45]
	v_fma_f64 v[118:119], v[6:7], v[118:119], v[183:184]
	v_add_f64 v[8:9], v[122:123], v[124:125]
	v_add_f64 v[14:15], v[90:91], v[116:117]
	v_fma_f64 v[52:53], v[52:53], -0.5, v[98:99]
	v_add_f64 v[62:63], v[72:73], -v[26:27]
	v_fma_f64 v[74:75], v[54:55], -0.5, v[96:97]
	v_add_f64 v[96:97], v[78:79], -v[28:29]
	v_add_f64 v[0:1], v[0:1], v[130:131]
	v_fma_f64 v[56:57], v[4:5], s[6:7], v[2:3]
	v_fma_f64 v[2:3], v[4:5], s[10:11], v[2:3]
	v_add_f64 v[18:19], v[102:103], v[86:87]
	v_fma_f64 v[20:21], v[20:21], -0.5, v[102:103]
	v_fma_f64 v[102:103], v[58:59], s[6:7], v[48:49]
	v_fma_f64 v[58:59], v[58:59], s[10:11], v[48:49]
	v_add_f64 v[48:49], v[68:69], v[76:77]
	v_lshrrev_b32_e32 v68, 2, v134
	v_add_f64 v[10:11], v[126:127], -v[84:85]
	v_add_f64 v[16:17], v[120:121], -v[82:83]
	;; [unrolled: 1-line block ×3, first 2 shown]
	v_fma_f64 v[8:9], v[8:9], -0.5, v[106:107]
	v_fma_f64 v[14:15], v[14:15], -0.5, v[104:105]
	v_mul_u32_u24_e32 v68, 12, v68
	v_or_b32_e32 v68, v68, v199
	v_add_f64 v[12:13], v[104:105], v[90:91]
	v_fma_f64 v[104:105], v[62:63], s[6:7], v[52:53]
	v_fma_f64 v[62:63], v[62:63], s[10:11], v[52:53]
	;; [unrolled: 1-line block ×4, first 2 shown]
	v_lshrrev_b32_e32 v69, 2, v136
	v_lshl_add_u32 v96, v68, 3, 0
	v_mul_lo_u32 v69, v69, 12
	ds_write2_b64 v96, v[0:1], v[56:57] offset1:4
	ds_write_b64 v96, v[2:3] offset:64
	v_lshrrev_b32_e32 v1, 2, v135
	v_mul_lo_u32 v1, v1, 12
	v_or_b32_e32 v0, v69, v200
	v_add_f64 v[6:7], v[106:107], v[122:123]
	v_fma_f64 v[4:5], v[10:11], s[6:7], v[8:9]
	v_fma_f64 v[8:9], v[10:11], s[10:11], v[8:9]
	;; [unrolled: 1-line block ×6, first 2 shown]
	v_add_f64 v[22:23], v[100:101], v[30:31]
	v_lshl_add_u32 v97, v0, 3, 0
	v_or_b32_e32 v0, v1, v201
	v_lshrrev_b32_e32 v1, 2, v137
	v_add_f64 v[60:61], v[98:99], v[34:35]
	v_mul_lo_u32 v1, v1, 12
	v_lshl_add_u32 v98, v0, 3, 0
	v_add_f64 v[6:7], v[6:7], v[124:125]
	v_add_f64 v[12:13], v[12:13], v[116:117]
	v_or_b32_e32 v0, v1, v202
	v_lshrrev_b32_e32 v1, 2, v139
	v_mul_lo_u32 v1, v1, 12
	v_add_f64 v[18:19], v[18:19], v[114:115]
	v_add_f64 v[22:23], v[22:23], v[36:37]
	;; [unrolled: 1-line block ×3, first 2 shown]
	v_lshl_add_u32 v99, v0, 3, 0
	v_or_b32_e32 v0, v1, v199
	v_lshrrev_b32_e32 v1, 2, v140
	v_mul_lo_u32 v1, v1, 12
	v_lshl_add_u32 v101, v0, 3, 0
	ds_write2_b64 v97, v[6:7], v[4:5] offset1:4
	ds_write_b64 v97, v[8:9] offset:64
	ds_write2_b64 v98, v[12:13], v[10:11] offset1:4
	ds_write_b64 v98, v[14:15] offset:64
	v_or_b32_e32 v0, v1, v203
	ds_write2_b64 v99, v[18:19], v[16:17] offset1:4
	ds_write_b64 v99, v[20:21] offset:64
	ds_write2_b64 v101, v[22:23], v[102:103] offset1:4
	ds_write_b64 v101, v[58:59] offset:64
	v_lshl_add_u32 v102, v0, 3, 0
	v_lshrrev_b32_e32 v100, 2, v141
	ds_write2_b64 v102, v[60:61], v[104:105] offset1:4
	ds_write_b64 v102, v[62:63] offset:64
	s_and_saveexec_b64 s[6:7], s[0:1]
	s_cbranch_execz .LBB0_19
; %bb.18:
	v_mul_lo_u32 v0, v100, 12
	v_or_b32_e32 v0, v0, v150
	v_lshl_add_u32 v0, v0, 3, 0
	ds_write2_b64 v0, v[48:49], v[54:55] offset1:4
	ds_write_b64 v0, v[52:53] offset:64
.LBB0_19:
	s_or_b64 exec, exec, s[6:7]
	v_add_u32_e32 v0, 0x800, v138
	s_waitcnt lgkmcnt(0)
	; wave barrier
	s_waitcnt lgkmcnt(0)
	ds_read2_b64 v[16:19], v0 offset0:164 offset1:227
	v_add_u32_e32 v0, 0x1800, v138
	ds_read2_b64 v[20:23], v0 offset0:72 offset1:135
	v_add_u32_e32 v0, 0x1000, v138
	v_add_u32_e32 v1, 0x1c00, v138
	ds_read2_b64 v[8:11], v0 offset0:34 offset1:97
	ds_read2_b64 v[12:15], v1 offset0:70 offset1:133
	ds_read_b64 v[74:75], v138
	ds_read_b64 v[68:69], v143
	;; [unrolled: 1-line block ×4, first 2 shown]
	ds_read2_b64 v[0:3], v0 offset0:160 offset1:223
	v_add_u32_e32 v4, 0x2000, v138
	ds_read2_b64 v[4:7], v4 offset0:68 offset1:131
	ds_read_b64 v[58:59], v147
	ds_read_b64 v[56:57], v149
	s_and_saveexec_b64 s[6:7], s[0:1]
	s_cbranch_execz .LBB0_21
; %bb.20:
	ds_read_b64 v[54:55], v138 offset:6384
	ds_read_b64 v[48:49], v148
	ds_read_b64 v[52:53], v138 offset:9744
.LBB0_21:
	s_or_b64 exec, exec, s[6:7]
	v_add_f64 v[103:104], v[132:133], v[88:89]
	v_add_f64 v[105:106], v[70:71], v[132:133]
	v_add_f64 v[107:108], v[128:129], -v[130:131]
	v_add_f64 v[109:110], v[126:127], v[84:85]
	v_add_f64 v[111:112], v[122:123], -v[124:125]
	v_add_f64 v[122:123], v[120:121], v[82:83]
	v_add_f64 v[124:125], v[118:119], v[80:81]
	s_mov_b32 s6, 0xe8584caa
	v_fma_f64 v[70:71], v[103:104], -0.5, v[70:71]
	s_mov_b32 s7, 0xbfebb67a
	s_mov_b32 s11, 0x3febb67a
	;; [unrolled: 1-line block ×3, first 2 shown]
	v_add_f64 v[103:104], v[66:67], v[126:127]
	v_fma_f64 v[66:67], v[109:110], -0.5, v[66:67]
	v_add_f64 v[88:89], v[105:106], v[88:89]
	v_add_f64 v[90:91], v[90:91], -v[116:117]
	v_fma_f64 v[105:106], v[107:108], s[6:7], v[70:71]
	v_fma_f64 v[70:71], v[107:108], s[10:11], v[70:71]
	v_add_f64 v[107:108], v[64:65], v[120:121]
	v_fma_f64 v[64:65], v[122:123], -0.5, v[64:65]
	v_add_f64 v[109:110], v[42:43], v[118:119]
	v_fma_f64 v[42:43], v[124:125], -0.5, v[42:43]
	v_add_f64 v[86:87], v[86:87], -v[114:115]
	v_add_f64 v[84:85], v[103:104], v[84:85]
	v_fma_f64 v[103:104], v[111:112], s[6:7], v[66:67]
	v_fma_f64 v[66:67], v[111:112], s[10:11], v[66:67]
	v_add_f64 v[107:108], v[107:108], v[82:83]
	v_fma_f64 v[111:112], v[90:91], s[6:7], v[64:65]
	v_fma_f64 v[64:65], v[90:91], s[10:11], v[64:65]
	;; [unrolled: 3-line block ×3, first 2 shown]
	v_add_f64 v[86:87], v[78:79], v[28:29]
	v_add_f64 v[82:83], v[46:47], v[24:25]
	;; [unrolled: 1-line block ×3, first 2 shown]
	v_add_f64 v[34:35], v[34:35], -v[50:51]
	v_add_f64 v[50:51], v[32:33], v[78:79]
	v_add_f64 v[44:45], v[44:45], -v[76:77]
	v_add_f64 v[46:47], v[40:41], v[46:47]
	v_add_f64 v[30:31], v[30:31], -v[36:37]
	v_fma_f64 v[32:33], v[86:87], -0.5, v[32:33]
	v_fma_f64 v[40:41], v[82:83], -0.5, v[40:41]
	v_add_f64 v[36:37], v[38:39], v[72:73]
	v_fma_f64 v[38:39], v[80:81], -0.5, v[38:39]
	v_add_f64 v[50:51], v[50:51], v[28:29]
	s_waitcnt lgkmcnt(0)
	v_add_f64 v[24:25], v[46:47], v[24:25]
	; wave barrier
	v_fma_f64 v[82:83], v[44:45], s[6:7], v[32:33]
	v_fma_f64 v[80:81], v[44:45], s[10:11], v[32:33]
	;; [unrolled: 1-line block ×4, first 2 shown]
	v_add_f64 v[26:27], v[36:37], v[26:27]
	v_fma_f64 v[36:37], v[34:35], s[6:7], v[38:39]
	v_fma_f64 v[34:35], v[34:35], s[10:11], v[38:39]
	ds_write2_b64 v96, v[88:89], v[105:106] offset1:4
	ds_write_b64 v96, v[70:71] offset:64
	ds_write2_b64 v97, v[84:85], v[103:104] offset1:4
	ds_write_b64 v97, v[66:67] offset:64
	;; [unrolled: 2-line block ×6, first 2 shown]
	s_and_saveexec_b64 s[6:7], s[0:1]
	s_cbranch_execz .LBB0_23
; %bb.22:
	v_mul_lo_u32 v24, v100, 12
	v_or_b32_e32 v24, v24, v150
	v_lshl_add_u32 v24, v24, 3, 0
	ds_write2_b64 v24, v[50:51], v[82:83] offset1:4
	ds_write_b64 v24, v[80:81] offset:64
.LBB0_23:
	s_or_b64 exec, exec, s[6:7]
	v_add_u32_e32 v24, 0x800, v138
	s_waitcnt lgkmcnt(0)
	; wave barrier
	s_waitcnt lgkmcnt(0)
	ds_read2_b64 v[40:43], v24 offset0:164 offset1:227
	v_add_u32_e32 v24, 0x1800, v138
	ds_read2_b64 v[44:47], v24 offset0:72 offset1:135
	v_add_u32_e32 v24, 0x1000, v138
	v_add_u32_e32 v25, 0x1c00, v138
	ds_read2_b64 v[32:35], v24 offset0:34 offset1:97
	ds_read2_b64 v[36:39], v25 offset0:70 offset1:133
	ds_read_b64 v[78:79], v138
	ds_read_b64 v[76:77], v143
	;; [unrolled: 1-line block ×4, first 2 shown]
	ds_read2_b64 v[24:27], v24 offset0:160 offset1:223
	v_add_u32_e32 v28, 0x2000, v138
	ds_read2_b64 v[28:31], v28 offset0:68 offset1:131
	ds_read_b64 v[66:67], v147
	ds_read_b64 v[64:65], v149
	s_and_saveexec_b64 s[6:7], s[0:1]
	s_cbranch_execz .LBB0_25
; %bb.24:
	ds_read_b64 v[82:83], v138 offset:6384
	ds_read_b64 v[50:51], v148
	ds_read_b64 v[80:81], v138 offset:9744
.LBB0_25:
	s_or_b64 exec, exec, s[6:7]
	s_movk_i32 s6, 0xab
	v_mul_lo_u16_sdwa v84, v134, s6 dst_sel:DWORD dst_unused:UNUSED_PAD src0_sel:BYTE_0 src1_sel:DWORD
	v_lshrrev_b16_e32 v133, 11, v84
	v_mul_lo_u16_e32 v84, 12, v133
	v_sub_u16_e32 v188, v134, v84
	v_mov_b32_e32 v96, 5
	v_lshlrev_b32_sdwa v97, v96, v188 dst_sel:DWORD dst_unused:UNUSED_PAD src0_sel:DWORD src1_sel:BYTE_0
	global_load_dwordx4 v[84:87], v97, s[8:9] offset:176
	global_load_dwordx4 v[88:91], v97, s[8:9] offset:160
	v_mul_lo_u16_sdwa v97, v136, s6 dst_sel:DWORD dst_unused:UNUSED_PAD src0_sel:BYTE_0 src1_sel:DWORD
	v_lshrrev_b16_e32 v189, 11, v97
	v_mul_lo_u16_e32 v97, 12, v189
	v_sub_u16_e32 v190, v136, v97
	v_lshlrev_b32_sdwa v97, v96, v190 dst_sel:DWORD dst_unused:UNUSED_PAD src0_sel:DWORD src1_sel:BYTE_0
	global_load_dwordx4 v[107:110], v97, s[8:9] offset:176
	global_load_dwordx4 v[102:105], v97, s[8:9] offset:160
	v_mul_lo_u16_sdwa v97, v135, s6 dst_sel:DWORD dst_unused:UNUSED_PAD src0_sel:BYTE_0 src1_sel:DWORD
	v_lshrrev_b16_e32 v191, 11, v97
	v_mul_lo_u16_e32 v97, 12, v191
	v_sub_u16_e32 v192, v135, v97
	;; [unrolled: 7-line block ×3, first 2 shown]
	v_lshlrev_b32_sdwa v96, v96, v194 dst_sel:DWORD dst_unused:UNUSED_PAD src0_sel:DWORD src1_sel:BYTE_0
	s_mov_b32 s6, 0xaaab
	global_load_dwordx4 v[119:122], v96, s[8:9] offset:176
	global_load_dwordx4 v[123:126], v96, s[8:9] offset:160
	v_mul_u32_u24_sdwa v96, v139, s6 dst_sel:DWORD dst_unused:UNUSED_PAD src0_sel:WORD_0 src1_sel:DWORD
	v_lshrrev_b32_e32 v195, 19, v96
	v_mul_lo_u16_e32 v96, 12, v195
	v_sub_u16_e32 v196, v139, v96
	v_lshlrev_b32_e32 v96, 5, v196
	global_load_dwordx4 v[127:130], v96, s[8:9] offset:176
	global_load_dwordx4 v[148:151], v96, s[8:9] offset:160
	v_mul_u32_u24_sdwa v96, v140, s6 dst_sel:DWORD dst_unused:UNUSED_PAD src0_sel:WORD_0 src1_sel:DWORD
	v_lshrrev_b32_e32 v197, 19, v96
	v_mul_lo_u16_e32 v96, 12, v197
	v_sub_u16_e32 v198, v140, v96
	v_lshlrev_b32_e32 v96, 5, v198
	;; [unrolled: 7-line block ×3, first 2 shown]
	global_load_dwordx4 v[160:163], v96, s[8:9] offset:160
	global_load_dwordx4 v[164:167], v96, s[8:9] offset:176
	s_mov_b32 s6, 0xe8584caa
	s_mov_b32 s7, 0x3febb67a
	;; [unrolled: 1-line block ×4, first 2 shown]
	s_waitcnt lgkmcnt(0)
	; wave barrier
	s_waitcnt lgkmcnt(0)
	v_sub_u32_e32 v106, 0, v146
	s_waitcnt vmcnt(13)
	v_mul_f64 v[100:101], v[44:45], v[86:87]
	s_waitcnt vmcnt(12)
	v_mul_f64 v[96:97], v[40:41], v[90:91]
	v_mul_f64 v[98:99], v[16:17], v[90:91]
	;; [unrolled: 1-line block ×3, first 2 shown]
	s_waitcnt vmcnt(11)
	v_mul_f64 v[139:140], v[46:47], v[109:110]
	s_waitcnt vmcnt(10)
	v_mul_f64 v[131:132], v[42:43], v[104:105]
	v_mul_f64 v[104:105], v[18:19], v[104:105]
	v_fma_f64 v[90:91], v[16:17], v[88:89], -v[96:97]
	v_fma_f64 v[100:101], v[20:21], v[84:85], -v[100:101]
	v_mul_f64 v[109:110], v[22:23], v[109:110]
	s_waitcnt vmcnt(9)
	v_mul_f64 v[170:171], v[36:37], v[113:114]
	s_waitcnt vmcnt(8)
	v_mul_f64 v[168:169], v[32:33], v[117:118]
	v_mul_f64 v[117:118], v[8:9], v[117:118]
	;; [unrolled: 1-line block ×3, first 2 shown]
	v_fma_f64 v[98:99], v[40:41], v[88:89], v[98:99]
	v_fma_f64 v[40:41], v[44:45], v[84:85], v[86:87]
	v_fma_f64 v[96:97], v[18:19], v[102:103], -v[131:132]
	s_waitcnt vmcnt(7)
	v_mul_f64 v[174:175], v[38:39], v[121:122]
	s_waitcnt vmcnt(6)
	v_mul_f64 v[172:173], v[34:35], v[125:126]
	v_mul_f64 v[125:126], v[10:11], v[125:126]
	v_fma_f64 v[104:105], v[42:43], v[102:103], v[104:105]
	v_fma_f64 v[102:103], v[22:23], v[107:108], -v[139:140]
	v_fma_f64 v[88:89], v[32:33], v[115:116], v[117:118]
	s_waitcnt vmcnt(5)
	v_mul_f64 v[178:179], v[28:29], v[129:130]
	s_waitcnt vmcnt(4)
	v_mul_f64 v[176:177], v[24:25], v[150:151]
	v_mul_f64 v[129:130], v[4:5], v[129:130]
	v_fma_f64 v[32:33], v[36:37], v[111:112], v[113:114]
	v_fma_f64 v[36:37], v[10:11], v[123:124], -v[172:173]
	v_mul_f64 v[150:151], v[0:1], v[150:151]
	s_waitcnt vmcnt(3)
	v_mul_f64 v[182:183], v[30:31], v[154:155]
	s_waitcnt vmcnt(2)
	v_mul_f64 v[180:181], v[26:27], v[158:159]
	v_mul_f64 v[158:159], v[2:3], v[158:159]
	;; [unrolled: 1-line block ×3, first 2 shown]
	v_fma_f64 v[10:11], v[4:5], v[127:128], -v[178:179]
	v_add_f64 v[4:5], v[90:91], v[100:101]
	v_fma_f64 v[84:85], v[8:9], v[115:116], -v[168:169]
	s_waitcnt vmcnt(0)
	v_mul_f64 v[186:187], v[80:81], v[166:167]
	v_fma_f64 v[86:87], v[12:13], v[111:112], -v[170:171]
	v_fma_f64 v[12:13], v[2:3], v[156:157], -v[180:181]
	v_add_f64 v[2:3], v[74:75], v[90:91]
	v_mul_f64 v[121:122], v[14:15], v[121:122]
	v_mul_f64 v[184:185], v[82:83], v[162:163]
	v_fma_f64 v[42:43], v[46:47], v[107:108], v[109:110]
	v_fma_f64 v[44:45], v[34:35], v[123:124], v[125:126]
	v_fma_f64 v[34:35], v[14:15], v[119:120], -v[174:175]
	v_fma_f64 v[8:9], v[0:1], v[148:149], -v[176:177]
	v_fma_f64 v[0:1], v[28:29], v[127:128], v[129:130]
	v_fma_f64 v[18:19], v[26:27], v[156:157], v[158:159]
	v_fma_f64 v[16:17], v[6:7], v[152:153], -v[182:183]
	v_fma_f64 v[6:7], v[30:31], v[152:153], v[154:155]
	v_add_f64 v[26:27], v[98:99], -v[40:41]
	v_fma_f64 v[28:29], v[4:5], -0.5, v[74:75]
	v_add_f64 v[30:31], v[96:97], v[102:103]
	v_mul_f64 v[166:167], v[52:53], v[166:167]
	v_fma_f64 v[14:15], v[24:25], v[148:149], v[150:151]
	v_fma_f64 v[24:25], v[52:53], v[164:165], -v[186:187]
	v_add_f64 v[52:53], v[2:3], v[100:101]
	v_add_f64 v[2:3], v[84:85], v[86:87]
	v_mul_f64 v[162:163], v[54:55], v[162:163]
	v_fma_f64 v[22:23], v[38:39], v[119:120], v[121:122]
	v_fma_f64 v[20:21], v[54:55], v[160:161], -v[184:185]
	v_add_f64 v[38:39], v[68:69], v[96:97]
	v_fma_f64 v[54:55], v[26:27], s[6:7], v[28:29]
	v_fma_f64 v[30:31], v[30:31], -0.5, v[68:69]
	v_add_f64 v[68:69], v[104:105], -v[42:43]
	v_fma_f64 v[74:75], v[26:27], s[10:11], v[28:29]
	v_add_f64 v[26:27], v[36:37], v[34:35]
	v_add_f64 v[28:29], v[62:63], v[84:85]
	v_fma_f64 v[2:3], v[2:3], -0.5, v[62:63]
	v_add_f64 v[62:63], v[88:89], -v[32:33]
	v_fma_f64 v[46:47], v[80:81], v[164:165], v[166:167]
	v_fma_f64 v[4:5], v[82:83], v[160:161], v[162:163]
	;; [unrolled: 1-line block ×4, first 2 shown]
	v_add_f64 v[68:69], v[60:61], v[36:37]
	v_fma_f64 v[60:61], v[26:27], -0.5, v[60:61]
	v_add_f64 v[26:27], v[8:9], v[10:11]
	v_add_f64 v[107:108], v[28:29], v[86:87]
	v_fma_f64 v[109:110], v[62:63], s[6:7], v[2:3]
	v_fma_f64 v[62:63], v[62:63], s[10:11], v[2:3]
	v_add_f64 v[2:3], v[12:13], v[16:17]
	v_add_f64 v[28:29], v[20:21], v[24:25]
	v_add_f64 v[82:83], v[44:45], -v[22:23]
	v_add_f64 v[113:114], v[58:59], v[8:9]
	v_fma_f64 v[58:59], v[26:27], -0.5, v[58:59]
	v_add_f64 v[115:116], v[14:15], -v[0:1]
	v_add_f64 v[117:118], v[56:57], v[12:13]
	v_add_f64 v[38:39], v[38:39], v[102:103]
	v_fma_f64 v[2:3], v[2:3], -0.5, v[56:57]
	v_add_f64 v[56:57], v[18:19], -v[6:7]
	v_fma_f64 v[26:27], v[28:29], -0.5, v[48:49]
	v_add_f64 v[28:29], v[4:5], -v[46:47]
	v_add_f64 v[68:69], v[68:69], v[34:35]
	v_fma_f64 v[111:112], v[82:83], s[6:7], v[60:61]
	v_fma_f64 v[82:83], v[82:83], s[10:11], v[60:61]
	v_mov_b32_e32 v61, 3
	v_fma_f64 v[119:120], v[115:116], s[6:7], v[58:59]
	v_fma_f64 v[115:116], v[115:116], s[10:11], v[58:59]
	v_mul_u32_u24_e32 v58, 0x120, v133
	v_lshlrev_b32_sdwa v59, v61, v188 dst_sel:DWORD dst_unused:UNUSED_PAD src0_sel:DWORD src1_sel:BYTE_0
	v_add_f64 v[113:114], v[113:114], v[10:11]
	v_add_f64 v[117:118], v[117:118], v[16:17]
	v_fma_f64 v[121:122], v[56:57], s[6:7], v[2:3]
	v_fma_f64 v[56:57], v[56:57], s[10:11], v[2:3]
	;; [unrolled: 1-line block ×3, first 2 shown]
	v_add3_u32 v58, 0, v58, v59
	ds_write2_b64 v58, v[52:53], v[54:55] offset1:12
	ds_write_b64 v58, v[74:75] offset:192
	v_mul_u32_u24_e32 v52, 0x120, v189
	v_lshlrev_b32_sdwa v53, v61, v190 dst_sel:DWORD dst_unused:UNUSED_PAD src0_sel:DWORD src1_sel:BYTE_0
	v_add3_u32 v59, 0, v52, v53
	ds_write2_b64 v59, v[38:39], v[80:81] offset1:12
	ds_write_b64 v59, v[30:31] offset:192
	v_mul_u32_u24_e32 v30, 0x120, v191
	v_lshlrev_b32_sdwa v31, v61, v192 dst_sel:DWORD dst_unused:UNUSED_PAD src0_sel:DWORD src1_sel:BYTE_0
	v_add3_u32 v60, 0, v30, v31
	v_mul_u32_u24_e32 v30, 0x120, v193
	v_lshlrev_b32_sdwa v31, v61, v194 dst_sel:DWORD dst_unused:UNUSED_PAD src0_sel:DWORD src1_sel:BYTE_0
	ds_write2_b64 v60, v[107:108], v[109:110] offset1:12
	ds_write_b64 v60, v[62:63] offset:192
	v_add3_u32 v63, 0, v30, v31
	v_mul_u32_u24_e32 v30, 0x120, v195
	v_lshlrev_b32_e32 v31, 3, v196
	ds_write2_b64 v63, v[68:69], v[111:112] offset1:12
	ds_write_b64 v63, v[82:83] offset:192
	v_add3_u32 v68, 0, v30, v31
	v_mul_u32_u24_e32 v30, 0x120, v197
	v_lshlrev_b32_e32 v31, 3, v198
	v_add3_u32 v69, 0, v30, v31
	v_mul_lo_u16_e32 v61, 36, v199
	v_lshlrev_b32_e32 v62, 3, v141
	ds_write2_b64 v68, v[113:114], v[119:120] offset1:12
	ds_write_b64 v68, v[115:116] offset:192
	ds_write2_b64 v69, v[117:118], v[121:122] offset1:12
	ds_write_b64 v69, v[56:57] offset:192
	s_and_saveexec_b64 s[12:13], s[0:1]
	s_cbranch_execz .LBB0_27
; %bb.26:
	v_mul_f64 v[28:29], v[28:29], s[6:7]
	v_add_f64 v[30:31], v[48:49], v[20:21]
	v_add_f64 v[26:27], v[28:29], v[26:27]
	;; [unrolled: 1-line block ×3, first 2 shown]
	v_lshlrev_b32_e32 v30, 3, v61
	v_add3_u32 v30, 0, v62, v30
	ds_write2_b64 v30, v[28:29], v[26:27] offset1:12
	ds_write_b64 v30, v[2:3] offset:192
.LBB0_27:
	s_or_b64 exec, exec, s[12:13]
	v_add_f64 v[26:27], v[98:99], v[40:41]
	v_add_f64 v[28:29], v[104:105], v[42:43]
	;; [unrolled: 1-line block ×3, first 2 shown]
	v_add_f64 v[38:39], v[90:91], -v[100:101]
	v_add_f64 v[54:55], v[88:89], v[32:33]
	v_add_f64 v[48:49], v[76:77], v[104:105]
	v_add_f64 v[52:53], v[96:97], -v[102:103]
	v_add_f64 v[56:57], v[72:73], v[88:89]
	v_fma_f64 v[26:27], v[26:27], -0.5, v[78:79]
	v_fma_f64 v[28:29], v[28:29], -0.5, v[76:77]
	v_add_f64 v[74:75], v[84:85], -v[86:87]
	v_add_f64 v[76:77], v[44:45], v[22:23]
	v_add_f64 v[82:83], v[30:31], v[40:41]
	v_fma_f64 v[30:31], v[54:55], -0.5, v[72:73]
	v_add_f64 v[84:85], v[48:49], v[42:43]
	v_add_f64 v[34:35], v[36:37], -v[34:35]
	v_fma_f64 v[72:73], v[38:39], s[10:11], v[26:27]
	v_fma_f64 v[86:87], v[38:39], s[6:7], v[26:27]
	v_add_f64 v[26:27], v[70:71], v[44:45]
	v_fma_f64 v[88:89], v[52:53], s[10:11], v[28:29]
	v_fma_f64 v[90:91], v[52:53], s[6:7], v[28:29]
	v_fma_f64 v[28:29], v[76:77], -0.5, v[70:71]
	v_add_f64 v[70:71], v[56:57], v[32:33]
	v_add_f64 v[32:33], v[14:15], v[0:1]
	v_fma_f64 v[76:77], v[74:75], s[10:11], v[30:31]
	v_fma_f64 v[74:75], v[74:75], s[6:7], v[30:31]
	v_add_f64 v[30:31], v[18:19], v[6:7]
	v_add_f64 v[96:97], v[26:27], v[22:23]
	;; [unrolled: 1-line block ×4, first 2 shown]
	v_add_f64 v[8:9], v[8:9], -v[10:11]
	v_fma_f64 v[26:27], v[32:33], -0.5, v[66:67]
	v_add_f64 v[10:11], v[64:65], v[18:19]
	v_add_f64 v[12:13], v[12:13], -v[16:17]
	v_fma_f64 v[18:19], v[30:31], -0.5, v[64:65]
	v_add_f64 v[52:53], v[20:21], -v[24:25]
	v_fma_f64 v[48:49], v[22:23], -0.5, v[50:51]
	v_add_u32_e32 v55, 0x1400, v138
	v_add_u32_e32 v78, 0x1c00, v138
	;; [unrolled: 1-line block ×7, first 2 shown]
	v_fma_f64 v[98:99], v[34:35], s[10:11], v[28:29]
	v_fma_f64 v[64:65], v[34:35], s[6:7], v[28:29]
	v_add_f64 v[66:67], v[14:15], v[0:1]
	v_fma_f64 v[100:101], v[8:9], s[10:11], v[26:27]
	v_fma_f64 v[102:103], v[8:9], s[6:7], v[26:27]
	v_add_f64 v[104:105], v[10:11], v[6:7]
	v_fma_f64 v[107:108], v[12:13], s[10:11], v[18:19]
	v_fma_f64 v[109:110], v[12:13], s[6:7], v[18:19]
	;; [unrolled: 1-line block ×3, first 2 shown]
	s_waitcnt lgkmcnt(0)
	; wave barrier
	s_waitcnt lgkmcnt(0)
	v_add_u32_e32 v54, v144, v106
	ds_read_b64 v[44:45], v147
	ds_read_b64 v[42:43], v54
	ds_read2_b64 v[28:31], v55 offset0:116 offset1:179
	ds_read2_b64 v[32:35], v78 offset0:112 offset1:175
	;; [unrolled: 1-line block ×7, first 2 shown]
	ds_read_b64 v[40:41], v138
	ds_read_b64 v[38:39], v143
	;; [unrolled: 1-line block ×4, first 2 shown]
	s_waitcnt lgkmcnt(0)
	; wave barrier
	s_waitcnt lgkmcnt(0)
	ds_write2_b64 v58, v[82:83], v[72:73] offset1:12
	ds_write_b64 v58, v[86:87] offset:192
	ds_write2_b64 v59, v[84:85], v[88:89] offset1:12
	ds_write_b64 v59, v[90:91] offset:192
	;; [unrolled: 2-line block ×6, first 2 shown]
	s_and_saveexec_b64 s[10:11], s[0:1]
	s_cbranch_execz .LBB0_29
; %bb.28:
	v_add_f64 v[4:5], v[50:51], v[4:5]
	v_mul_f64 v[50:51], v[52:53], s[6:7]
	v_add_f64 v[4:5], v[4:5], v[46:47]
	v_add_f64 v[46:47], v[48:49], -v[50:51]
	v_lshlrev_b32_e32 v48, 3, v61
	v_add3_u32 v48, 0, v62, v48
	ds_write2_b64 v48, v[4:5], v[46:47] offset1:12
	ds_write_b64 v48, v[6:7] offset:192
.LBB0_29:
	s_or_b64 exec, exec, s[10:11]
	v_subrev_u32_e32 v4, 36, v134
	v_cmp_gt_u32_e64 s[0:1], 36, v134
	v_cndmask_b32_e64 v46, v4, v134, s[0:1]
	v_lshlrev_b32_e32 v4, 2, v46
	v_mov_b32_e32 v5, 0
	v_lshlrev_b64 v[4:5], 4, v[4:5]
	v_mov_b32_e32 v47, s9
	v_add_co_u32_e64 v4, s[0:1], s8, v4
	v_addc_co_u32_e64 v5, s[0:1], v47, v5, s[0:1]
	s_waitcnt lgkmcnt(0)
	; wave barrier
	s_waitcnt lgkmcnt(0)
	global_load_dwordx4 v[58:61], v[4:5], off offset:592
	global_load_dwordx4 v[62:65], v[4:5], off offset:576
	;; [unrolled: 1-line block ×4, first 2 shown]
	v_mov_b32_e32 v4, 57
	v_mul_lo_u16_sdwa v5, v136, v4 dst_sel:DWORD dst_unused:UNUSED_PAD src0_sel:BYTE_0 src1_sel:DWORD
	v_lshrrev_b16_e32 v47, 11, v5
	v_mul_lo_u16_e32 v5, 36, v47
	v_sub_u16_e32 v141, v136, v5
	v_mov_b32_e32 v5, 6
	v_lshlrev_b32_sdwa v48, v5, v141 dst_sel:DWORD dst_unused:UNUSED_PAD src0_sel:DWORD src1_sel:BYTE_0
	global_load_dwordx4 v[74:77], v48, s[8:9] offset:560
	global_load_dwordx4 v[82:85], v48, s[8:9] offset:544
	;; [unrolled: 1-line block ×4, first 2 shown]
	v_mul_lo_u16_sdwa v48, v135, v4 dst_sel:DWORD dst_unused:UNUSED_PAD src0_sel:BYTE_0 src1_sel:DWORD
	v_lshrrev_b16_e32 v200, 11, v48
	v_mul_lo_u16_e32 v48, 36, v200
	v_sub_u16_e32 v201, v135, v48
	v_lshlrev_b32_sdwa v48, v5, v201 dst_sel:DWORD dst_unused:UNUSED_PAD src0_sel:DWORD src1_sel:BYTE_0
	global_load_dwordx4 v[120:123], v48, s[8:9] offset:544
	global_load_dwordx4 v[124:127], v48, s[8:9] offset:560
	;; [unrolled: 1-line block ×4, first 2 shown]
	v_mul_lo_u16_sdwa v4, v137, v4 dst_sel:DWORD dst_unused:UNUSED_PAD src0_sel:BYTE_0 src1_sel:DWORD
	v_lshrrev_b16_e32 v202, 11, v4
	v_mul_lo_u16_e32 v4, 36, v202
	v_sub_u16_e32 v137, v137, v4
	v_lshlrev_b32_sdwa v4, v5, v137 dst_sel:DWORD dst_unused:UNUSED_PAD src0_sel:DWORD src1_sel:BYTE_0
	global_load_dwordx4 v[152:155], v4, s[8:9] offset:544
	global_load_dwordx4 v[156:159], v4, s[8:9] offset:560
	;; [unrolled: 1-line block ×4, first 2 shown]
	ds_read_b64 v[50:51], v147
	ds_read_b64 v[86:87], v54
	ds_read2_b64 v[168:171], v55 offset0:116 offset1:179
	ds_read2_b64 v[172:175], v78 offset0:112 offset1:175
	;; [unrolled: 1-line block ×7, first 2 shown]
	ds_read_b64 v[96:97], v138
	ds_read_b64 v[52:53], v143
	;; [unrolled: 1-line block ×4, first 2 shown]
	s_mov_b32 s6, 0x134454ff
	s_mov_b32 s7, 0x3fee6f0e
	;; [unrolled: 1-line block ×10, first 2 shown]
	v_cmp_lt_u32_e64 s[0:1], 35, v134
	s_waitcnt lgkmcnt(0)
	; wave barrier
	s_waitcnt vmcnt(15) lgkmcnt(0)
	v_mul_f64 v[90:91], v[172:173], v[60:61]
	s_waitcnt vmcnt(14)
	v_mul_f64 v[88:89], v[168:169], v[64:65]
	v_mul_f64 v[64:65], v[28:29], v[64:65]
	s_waitcnt vmcnt(12)
	v_mul_f64 v[54:55], v[50:51], v[72:73]
	v_mul_f64 v[56:57], v[44:45], v[72:73]
	;; [unrolled: 1-line block ×5, first 2 shown]
	s_waitcnt vmcnt(11)
	v_mul_f64 v[132:133], v[182:183], v[76:77]
	s_waitcnt vmcnt(10)
	v_mul_f64 v[106:107], v[176:177], v[84:85]
	v_mul_f64 v[84:85], v[24:25], v[84:85]
	;; [unrolled: 1-line block ×3, first 2 shown]
	s_waitcnt vmcnt(8)
	v_mul_f64 v[139:140], v[170:171], v[110:111]
	v_mul_f64 v[144:145], v[30:31], v[110:111]
	s_waitcnt vmcnt(7)
	v_mul_f64 v[196:197], v[178:179], v[122:123]
	v_mul_f64 v[146:147], v[174:175], v[102:103]
	;; [unrolled: 1-line block ×3, first 2 shown]
	v_fma_f64 v[106:107], v[24:25], v[82:83], -v[106:107]
	s_waitcnt vmcnt(5)
	v_mul_f64 v[24:25], v[188:189], v[130:131]
	v_mul_f64 v[122:123], v[26:27], v[122:123]
	v_fma_f64 v[116:117], v[44:45], v[70:71], -v[54:55]
	v_fma_f64 v[112:113], v[42:43], v[66:67], -v[72:73]
	;; [unrolled: 1-line block ×3, first 2 shown]
	v_fma_f64 v[98:99], v[168:169], v[62:63], v[64:65]
	v_fma_f64 v[118:119], v[32:33], v[58:59], -v[90:91]
	v_fma_f64 v[88:89], v[172:173], v[58:59], v[60:61]
	v_fma_f64 v[60:61], v[176:177], v[82:83], v[84:85]
	v_fma_f64 v[64:65], v[182:183], v[74:75], v[76:77]
	v_fma_f64 v[90:91], v[30:31], v[108:109], -v[139:140]
	v_mul_f64 v[28:29], v[12:13], v[130:131]
	v_fma_f64 v[82:83], v[26:27], v[120:121], -v[196:197]
	s_waitcnt vmcnt(4)
	v_mul_f64 v[26:27], v[192:193], v[150:151]
	v_mul_f64 v[30:31], v[8:9], v[150:151]
	v_fma_f64 v[76:77], v[12:13], v[128:129], -v[24:25]
	s_waitcnt vmcnt(3)
	v_mul_f64 v[12:13], v[180:181], v[154:155]
	v_mul_f64 v[198:199], v[184:185], v[126:127]
	v_fma_f64 v[110:111], v[50:51], v[70:71], v[56:57]
	v_fma_f64 v[104:105], v[86:87], v[66:67], v[68:69]
	;; [unrolled: 1-line block ×3, first 2 shown]
	v_fma_f64 v[108:109], v[34:35], v[100:101], -v[146:147]
	v_fma_f64 v[68:69], v[174:175], v[100:101], v[102:103]
	v_fma_f64 v[100:101], v[8:9], v[148:149], -v[26:27]
	v_fma_f64 v[54:55], v[192:193], v[148:149], v[30:31]
	v_mul_f64 v[8:9], v[20:21], v[154:155]
	s_waitcnt vmcnt(2)
	v_mul_f64 v[24:25], v[186:187], v[158:159]
	v_add_f64 v[26:27], v[40:41], v[116:117]
	v_add_f64 v[30:31], v[112:113], v[114:115]
	v_fma_f64 v[58:59], v[20:21], v[152:153], -v[12:13]
	s_waitcnt vmcnt(1)
	v_mul_f64 v[12:13], v[190:191], v[162:163]
	v_mul_f64 v[126:127], v[16:17], v[126:127]
	v_fma_f64 v[86:87], v[22:23], v[74:75], -v[132:133]
	v_fma_f64 v[74:75], v[16:17], v[124:125], -v[198:199]
	v_fma_f64 v[16:17], v[188:189], v[128:129], v[28:29]
	v_mul_f64 v[28:29], v[18:19], v[158:159]
	v_mul_f64 v[32:33], v[14:15], v[162:163]
	v_fma_f64 v[20:21], v[180:181], v[152:153], v[8:9]
	v_fma_f64 v[62:63], v[18:19], v[156:157], -v[24:25]
	v_add_f64 v[8:9], v[26:27], v[112:113]
	v_fma_f64 v[24:25], v[30:31], -0.5, v[40:41]
	v_add_f64 v[26:27], v[110:111], -v[88:89]
	v_fma_f64 v[70:71], v[14:15], v[160:161], -v[12:13]
	s_waitcnt vmcnt(0)
	v_mul_f64 v[12:13], v[194:195], v[166:167]
	v_add_f64 v[42:43], v[116:117], v[118:119]
	v_fma_f64 v[56:57], v[186:187], v[156:157], v[28:29]
	v_fma_f64 v[18:19], v[190:191], v[160:161], v[32:33]
	v_mul_f64 v[14:15], v[10:11], v[166:167]
	v_add_f64 v[8:9], v[8:9], v[114:115]
	v_fma_f64 v[28:29], v[26:27], s[6:7], v[24:25]
	v_add_f64 v[30:31], v[104:105], -v[98:99]
	v_add_f64 v[32:33], v[116:117], -v[112:113]
	v_add_f64 v[34:35], v[118:119], -v[114:115]
	v_fma_f64 v[102:103], v[10:11], v[164:165], -v[12:13]
	v_fma_f64 v[12:13], v[42:43], -0.5, v[40:41]
	v_fma_f64 v[84:85], v[194:195], v[164:165], v[14:15]
	v_add_f64 v[44:45], v[8:9], v[118:119]
	v_fma_f64 v[14:15], v[26:27], s[18:19], v[24:25]
	v_fma_f64 v[8:9], v[30:31], s[12:13], v[28:29]
	v_add_f64 v[24:25], v[38:39], v[106:107]
	v_add_f64 v[10:11], v[32:33], v[34:35]
	v_add_f64 v[28:29], v[86:87], v[90:91]
	v_fma_f64 v[32:33], v[30:31], s[18:19], v[12:13]
	v_add_f64 v[34:35], v[112:113], -v[116:117]
	v_add_f64 v[40:41], v[114:115], -v[118:119]
	v_fma_f64 v[12:13], v[30:31], s[6:7], v[12:13]
	v_fma_f64 v[14:15], v[30:31], s[16:17], v[14:15]
	v_add_f64 v[24:25], v[24:25], v[86:87]
	v_add_f64 v[30:31], v[60:61], -v[68:69]
	v_fma_f64 v[28:29], v[28:29], -0.5, v[38:39]
	v_fma_f64 v[32:33], v[26:27], s[12:13], v[32:33]
	v_fma_f64 v[22:23], v[178:179], v[120:121], v[122:123]
	v_add_f64 v[34:35], v[34:35], v[40:41]
	v_fma_f64 v[40:41], v[10:11], s[10:11], v[8:9]
	v_fma_f64 v[8:9], v[26:27], s[16:17], v[12:13]
	v_add_f64 v[12:13], v[106:107], v[108:109]
	v_fma_f64 v[42:43], v[10:11], s[10:11], v[14:15]
	v_add_f64 v[10:11], v[24:25], v[90:91]
	v_fma_f64 v[14:15], v[30:31], s[6:7], v[28:29]
	v_add_f64 v[24:25], v[64:65], -v[66:67]
	v_fma_f64 v[26:27], v[34:35], s[10:11], v[32:33]
	v_add_f64 v[32:33], v[74:75], v[76:77]
	v_add_f64 v[72:73], v[106:107], -v[86:87]
	v_add_f64 v[120:121], v[108:109], -v[90:91]
	v_fma_f64 v[34:35], v[34:35], s[10:11], v[8:9]
	v_fma_f64 v[8:9], v[12:13], -0.5, v[38:39]
	v_fma_f64 v[50:51], v[184:185], v[124:125], v[126:127]
	v_add_f64 v[38:39], v[10:11], v[108:109]
	v_fma_f64 v[10:11], v[24:25], s[12:13], v[14:15]
	v_add_f64 v[12:13], v[36:37], v[82:83]
	v_fma_f64 v[14:15], v[32:33], -0.5, v[36:37]
	v_add_f64 v[32:33], v[22:23], -v[54:55]
	v_add_f64 v[72:73], v[72:73], v[120:121]
	v_fma_f64 v[28:29], v[30:31], s[18:19], v[28:29]
	v_fma_f64 v[120:121], v[24:25], s[18:19], v[8:9]
	v_add_f64 v[122:123], v[86:87], -v[106:107]
	v_add_f64 v[124:125], v[90:91], -v[108:109]
	v_fma_f64 v[8:9], v[24:25], s[6:7], v[8:9]
	v_add_f64 v[12:13], v[12:13], v[74:75]
	v_fma_f64 v[126:127], v[32:33], s[6:7], v[14:15]
	v_add_f64 v[128:129], v[50:51], -v[16:17]
	v_fma_f64 v[24:25], v[24:25], s[16:17], v[28:29]
	v_add_f64 v[28:29], v[82:83], v[100:101]
	v_fma_f64 v[120:121], v[30:31], s[12:13], v[120:121]
	v_add_f64 v[122:123], v[122:123], v[124:125]
	v_fma_f64 v[8:9], v[30:31], s[16:17], v[8:9]
	v_add_f64 v[130:131], v[82:83], -v[74:75]
	v_add_f64 v[132:133], v[100:101], -v[76:77]
	v_add_f64 v[12:13], v[12:13], v[76:77]
	v_fma_f64 v[30:31], v[128:129], s[12:13], v[126:127]
	v_fma_f64 v[126:127], v[72:73], s[10:11], v[10:11]
	v_fma_f64 v[10:11], v[28:29], -0.5, v[36:37]
	v_fma_f64 v[28:29], v[122:123], s[10:11], v[120:121]
	v_fma_f64 v[36:37], v[122:123], s[10:11], v[8:9]
	v_add_f64 v[8:9], v[62:63], v[70:71]
	v_add_f64 v[120:121], v[58:59], v[102:103]
	;; [unrolled: 1-line block ×3, first 2 shown]
	v_fma_f64 v[24:25], v[72:73], s[10:11], v[24:25]
	v_add_f64 v[72:73], v[74:75], -v[82:83]
	v_add_f64 v[122:123], v[76:77], -v[100:101]
	v_add_f64 v[132:133], v[0:1], v[58:59]
	v_add_f64 v[130:131], v[12:13], v[100:101]
	v_fma_f64 v[12:13], v[32:33], s[18:19], v[14:15]
	v_fma_f64 v[8:9], v[8:9], -0.5, v[0:1]
	v_add_f64 v[139:140], v[20:21], -v[84:85]
	v_add_f64 v[144:145], v[56:57], -v[18:19]
	v_fma_f64 v[0:1], v[120:121], -0.5, v[0:1]
	v_fma_f64 v[14:15], v[128:129], s[18:19], v[10:11]
	v_add_f64 v[120:121], v[72:73], v[122:123]
	v_fma_f64 v[10:11], v[128:129], s[6:7], v[10:11]
	v_add_f64 v[72:73], v[132:133], v[62:63]
	v_fma_f64 v[12:13], v[128:129], s[16:17], v[12:13]
	v_fma_f64 v[122:123], v[139:140], s[6:7], v[8:9]
	v_add_f64 v[128:129], v[58:59], -v[62:63]
	v_add_f64 v[132:133], v[102:103], -v[70:71]
	v_fma_f64 v[8:9], v[139:140], s[18:19], v[8:9]
	v_fma_f64 v[146:147], v[144:145], s[18:19], v[0:1]
	v_add_f64 v[148:149], v[62:63], -v[58:59]
	v_add_f64 v[150:151], v[70:71], -v[102:103]
	v_fma_f64 v[0:1], v[144:145], s[6:7], v[0:1]
	v_fma_f64 v[14:15], v[32:33], s[12:13], v[14:15]
	;; [unrolled: 1-line block ×3, first 2 shown]
	v_add_f64 v[32:33], v[72:73], v[70:71]
	v_fma_f64 v[122:123], v[144:145], s[12:13], v[122:123]
	v_add_f64 v[128:129], v[128:129], v[132:133]
	v_fma_f64 v[8:9], v[144:145], s[16:17], v[8:9]
	v_fma_f64 v[132:133], v[139:140], s[12:13], v[146:147]
	v_add_f64 v[144:145], v[148:149], v[150:151]
	v_fma_f64 v[139:140], v[139:140], s[16:17], v[0:1]
	v_fma_f64 v[30:31], v[124:125], s[10:11], v[30:31]
	;; [unrolled: 1-line block ×3, first 2 shown]
	v_add_f64 v[12:13], v[32:33], v[102:103]
	v_mov_b32_e32 v32, 0x5a0
	v_fma_f64 v[124:125], v[120:121], s[10:11], v[14:15]
	v_fma_f64 v[146:147], v[120:121], s[10:11], v[10:11]
	v_fma_f64 v[14:15], v[128:129], s[10:11], v[122:123]
	v_cndmask_b32_e64 v32, 0, v32, s[0:1]
	v_lshlrev_b32_e32 v33, 3, v46
	v_fma_f64 v[0:1], v[128:129], s[10:11], v[8:9]
	v_fma_f64 v[8:9], v[144:145], s[10:11], v[132:133]
	;; [unrolled: 1-line block ×3, first 2 shown]
	v_add3_u32 v120, 0, v32, v33
	ds_write2_b64 v120, v[44:45], v[40:41] offset1:36
	ds_write2_b64 v120, v[26:27], v[34:35] offset0:72 offset1:108
	ds_write_b64 v120, v[42:43] offset:1152
	v_mov_b32_e32 v27, 3
	v_mul_u32_u24_e32 v26, 0x5a0, v47
	v_lshlrev_b32_sdwa v32, v27, v141 dst_sel:DWORD dst_unused:UNUSED_PAD src0_sel:DWORD src1_sel:BYTE_0
	v_add3_u32 v121, 0, v26, v32
	ds_write2_b64 v121, v[38:39], v[126:127] offset1:36
	ds_write2_b64 v121, v[28:29], v[36:37] offset0:72 offset1:108
	ds_write_b64 v121, v[24:25] offset:1152
	v_mul_u32_u24_e32 v24, 0x5a0, v200
	v_lshlrev_b32_sdwa v25, v27, v201 dst_sel:DWORD dst_unused:UNUSED_PAD src0_sel:DWORD src1_sel:BYTE_0
	v_add3_u32 v122, 0, v24, v25
	v_mul_u32_u24_e32 v24, 0x5a0, v202
	v_lshlrev_b32_sdwa v25, v27, v137 dst_sel:DWORD dst_unused:UNUSED_PAD src0_sel:DWORD src1_sel:BYTE_0
	ds_write2_b64 v122, v[130:131], v[30:31] offset1:36
	ds_write2_b64 v122, v[124:125], v[146:147] offset0:72 offset1:108
	ds_write_b64 v122, v[72:73] offset:1152
	v_add3_u32 v123, 0, v24, v25
	v_add_u32_e32 v124, 0x400, v138
	ds_write2_b64 v123, v[12:13], v[14:15] offset1:36
	ds_write2_b64 v123, v[8:9], v[10:11] offset0:72 offset1:108
	ds_write_b64 v123, v[0:1] offset:1152
	s_waitcnt lgkmcnt(0)
	; wave barrier
	s_waitcnt lgkmcnt(0)
	ds_read2_b64 v[24:27], v138 offset1:180
	ds_read2_b64 v[40:43], v124 offset0:115 offset1:232
	ds_read2_b64 v[36:39], v79 offset0:39 offset1:156
	;; [unrolled: 1-line block ×5, first 2 shown]
	ds_read_b64 v[78:79], v143
	ds_read_b64 v[80:81], v138 offset:9144
	v_cmp_gt_u32_e64 s[0:1], 54, v134
	s_and_saveexec_b64 s[20:21], s[0:1]
	s_cbranch_execz .LBB0_31
; %bb.30:
	v_add_u32_e32 v0, 0x800, v138
	ds_read2_b64 v[12:15], v0 offset0:50 offset1:230
	v_add_u32_e32 v0, 0x1400, v138
	ds_read2_b64 v[8:11], v0 offset0:26 offset1:206
	v_add_u32_e32 v0, 0x2000, v138
	ds_read_b64 v[72:73], v142
	ds_read2_b64 v[0:3], v0 offset0:2 offset1:182
.LBB0_31:
	s_or_b64 exec, exec, s[20:21]
	v_add_f64 v[125:126], v[104:105], v[98:99]
	v_add_f64 v[116:117], v[116:117], -v[118:119]
	v_add_f64 v[118:119], v[110:111], v[88:89]
	v_add_f64 v[127:128], v[96:97], v[110:111]
	v_add_f64 v[112:113], v[112:113], -v[114:115]
	v_add_f64 v[114:115], v[110:111], -v[104:105]
	;; [unrolled: 1-line block ×3, first 2 shown]
	v_add_f64 v[139:140], v[52:53], v[60:61]
	v_fma_f64 v[125:126], v[125:126], -0.5, v[96:97]
	v_add_f64 v[110:111], v[104:105], -v[110:111]
	v_fma_f64 v[96:97], v[118:119], -0.5, v[96:97]
	v_add_f64 v[131:132], v[98:99], -v[88:89]
	v_add_f64 v[118:119], v[64:65], v[66:67]
	v_add_f64 v[104:105], v[127:128], v[104:105]
	v_add_f64 v[106:107], v[106:107], -v[108:109]
	v_add_f64 v[114:115], v[114:115], v[129:130]
	v_fma_f64 v[108:109], v[116:117], s[18:19], v[125:126]
	v_fma_f64 v[125:126], v[116:117], s[6:7], v[125:126]
	;; [unrolled: 1-line block ×3, first 2 shown]
	v_add_f64 v[139:140], v[139:140], v[64:65]
	v_fma_f64 v[96:97], v[112:113], s[18:19], v[96:97]
	v_add_f64 v[127:128], v[60:61], v[68:69]
	v_add_f64 v[98:99], v[104:105], v[98:99]
	v_add_f64 v[110:111], v[110:111], v[131:132]
	v_fma_f64 v[104:105], v[112:113], s[16:17], v[108:109]
	v_fma_f64 v[108:109], v[112:113], s[12:13], v[125:126]
	v_fma_f64 v[112:113], v[118:119], -0.5, v[52:53]
	v_fma_f64 v[118:119], v[116:117], s[16:17], v[129:130]
	v_add_f64 v[125:126], v[139:140], v[66:67]
	v_fma_f64 v[96:97], v[116:117], s[12:13], v[96:97]
	v_add_f64 v[88:89], v[98:99], v[88:89]
	v_add_f64 v[86:87], v[86:87], -v[90:91]
	v_fma_f64 v[98:99], v[114:115], s[10:11], v[104:105]
	v_fma_f64 v[104:105], v[114:115], s[10:11], v[108:109]
	v_add_f64 v[114:115], v[50:51], v[16:17]
	v_fma_f64 v[90:91], v[110:111], s[10:11], v[118:119]
	v_add_f64 v[116:117], v[60:61], -v[64:65]
	v_add_f64 v[118:119], v[68:69], -v[66:67]
	v_fma_f64 v[96:97], v[110:111], s[10:11], v[96:97]
	v_fma_f64 v[52:53], v[127:128], -0.5, v[52:53]
	v_add_f64 v[110:111], v[125:126], v[68:69]
	v_add_f64 v[125:126], v[48:49], v[22:23]
	v_fma_f64 v[108:109], v[106:107], s[18:19], v[112:113]
	v_fma_f64 v[114:115], v[114:115], -0.5, v[48:49]
	v_add_f64 v[82:83], v[82:83], -v[100:101]
	v_add_f64 v[100:101], v[116:117], v[118:119]
	v_fma_f64 v[112:113], v[106:107], s[6:7], v[112:113]
	v_fma_f64 v[116:117], v[86:87], s[6:7], v[52:53]
	v_add_f64 v[60:61], v[64:65], -v[60:61]
	v_add_f64 v[64:65], v[66:67], -v[68:69]
	v_fma_f64 v[52:53], v[86:87], s[18:19], v[52:53]
	v_add_f64 v[66:67], v[125:126], v[50:51]
	v_fma_f64 v[108:109], v[86:87], s[16:17], v[108:109]
	v_fma_f64 v[68:69], v[82:83], s[18:19], v[114:115]
	v_add_f64 v[74:75], v[74:75], -v[76:77]
	v_add_f64 v[76:77], v[22:23], -v[50:51]
	;; [unrolled: 1-line block ×3, first 2 shown]
	v_fma_f64 v[86:87], v[86:87], s[12:13], v[112:113]
	v_fma_f64 v[116:117], v[106:107], s[16:17], v[116:117]
	v_add_f64 v[60:61], v[60:61], v[64:65]
	v_fma_f64 v[52:53], v[106:107], s[12:13], v[52:53]
	v_add_f64 v[64:65], v[66:67], v[16:17]
	v_add_f64 v[112:113], v[22:23], v[54:55]
	v_fma_f64 v[66:67], v[74:75], s[16:17], v[68:69]
	v_add_f64 v[68:69], v[76:77], v[118:119]
	v_fma_f64 v[76:77], v[100:101], s[10:11], v[108:109]
	v_fma_f64 v[86:87], v[100:101], s[10:11], v[86:87]
	;; [unrolled: 1-line block ×4, first 2 shown]
	v_add_f64 v[60:61], v[64:65], v[54:55]
	v_add_f64 v[64:65], v[56:57], v[18:19]
	v_add_f64 v[22:23], v[50:51], -v[22:23]
	v_add_f64 v[50:51], v[20:21], v[84:85]
	v_fma_f64 v[48:49], v[112:113], -0.5, v[48:49]
	v_fma_f64 v[106:107], v[82:83], s[6:7], v[114:115]
	v_add_f64 v[16:17], v[16:17], -v[54:55]
	v_add_f64 v[54:55], v[4:5], v[20:21]
	v_add_f64 v[58:59], v[58:59], -v[102:103]
	v_fma_f64 v[64:65], v[64:65], -0.5, v[4:5]
	v_add_f64 v[62:63], v[62:63], -v[70:71]
	v_fma_f64 v[4:5], v[50:51], -0.5, v[4:5]
	v_fma_f64 v[108:109], v[74:75], s[6:7], v[48:49]
	v_fma_f64 v[102:103], v[74:75], s[12:13], v[106:107]
	v_add_f64 v[16:17], v[22:23], v[16:17]
	v_fma_f64 v[22:23], v[74:75], s[18:19], v[48:49]
	v_add_f64 v[48:49], v[54:55], v[56:57]
	v_fma_f64 v[50:51], v[58:59], s[18:19], v[64:65]
	v_add_f64 v[54:55], v[20:21], -v[56:57]
	v_add_f64 v[70:71], v[84:85], -v[18:19]
	v_fma_f64 v[64:65], v[58:59], s[6:7], v[64:65]
	v_fma_f64 v[74:75], v[62:63], s[6:7], v[4:5]
	v_add_f64 v[20:21], v[56:57], -v[20:21]
	v_add_f64 v[56:57], v[18:19], -v[84:85]
	v_fma_f64 v[4:5], v[62:63], s[18:19], v[4:5]
	v_fma_f64 v[106:107], v[82:83], s[16:17], v[108:109]
	;; [unrolled: 1-line block ×3, first 2 shown]
	v_add_f64 v[18:19], v[48:49], v[18:19]
	v_fma_f64 v[48:49], v[62:63], s[16:17], v[50:51]
	v_add_f64 v[50:51], v[54:55], v[70:71]
	v_fma_f64 v[54:55], v[62:63], s[12:13], v[64:65]
	v_fma_f64 v[62:63], v[58:59], s[16:17], v[74:75]
	v_add_f64 v[56:57], v[20:21], v[56:57]
	v_fma_f64 v[58:59], v[58:59], s[12:13], v[4:5]
	v_fma_f64 v[66:67], v[68:69], s[10:11], v[66:67]
	;; [unrolled: 1-line block ×5, first 2 shown]
	v_add_f64 v[20:21], v[18:19], v[84:85]
	v_fma_f64 v[22:23], v[50:51], s[10:11], v[48:49]
	v_fma_f64 v[4:5], v[50:51], s[10:11], v[54:55]
	;; [unrolled: 1-line block ×4, first 2 shown]
	s_waitcnt lgkmcnt(0)
	; wave barrier
	s_waitcnt lgkmcnt(0)
	ds_write2_b64 v120, v[88:89], v[98:99] offset1:36
	ds_write2_b64 v120, v[90:91], v[96:97] offset0:72 offset1:108
	ds_write_b64 v120, v[104:105] offset:1152
	ds_write2_b64 v121, v[110:111], v[76:77] offset1:36
	ds_write2_b64 v121, v[100:101], v[52:53] offset0:72 offset1:108
	ds_write_b64 v121, v[86:87] offset:1152
	;; [unrolled: 3-line block ×4, first 2 shown]
	v_add_u32_e32 v52, 0xc00, v138
	v_add_u32_e32 v56, 0x1000, v138
	;; [unrolled: 1-line block ×4, first 2 shown]
	s_waitcnt lgkmcnt(0)
	; wave barrier
	s_waitcnt lgkmcnt(0)
	ds_read2_b64 v[48:51], v138 offset1:180
	ds_read2_b64 v[60:63], v124 offset0:115 offset1:232
	ds_read2_b64 v[52:55], v52 offset0:39 offset1:156
	;; [unrolled: 1-line block ×5, first 2 shown]
	ds_read_b64 v[82:83], v143
	ds_read_b64 v[84:85], v138 offset:9144
	s_and_saveexec_b64 s[6:7], s[0:1]
	s_cbranch_execz .LBB0_33
; %bb.32:
	v_add_u32_e32 v4, 0x800, v138
	ds_read2_b64 v[20:23], v4 offset0:50 offset1:230
	v_add_u32_e32 v4, 0x1400, v138
	ds_read2_b64 v[16:19], v4 offset0:26 offset1:206
	v_add_u32_e32 v4, 0x2000, v138
	ds_read_b64 v[74:75], v142
	ds_read2_b64 v[4:7], v4 offset0:2 offset1:182
.LBB0_33:
	s_or_b64 exec, exec, s[6:7]
	s_and_saveexec_b64 s[6:7], vcc
	s_cbranch_execz .LBB0_36
; %bb.34:
	v_mul_i32_i24_e32 v76, 6, v136
	v_mov_b32_e32 v77, 0
	v_lshlrev_b64 v[90:91], 4, v[76:77]
	v_mul_u32_u24_e32 v86, 6, v134
	v_mov_b32_e32 v76, s9
	v_lshlrev_b32_e32 v124, 4, v86
	v_add_co_u32_e32 v90, vcc, s8, v90
	global_load_dwordx4 v[86:89], v124, s[8:9] offset:2896
	global_load_dwordx4 v[96:99], v124, s[8:9] offset:2880
	;; [unrolled: 1-line block ×5, first 2 shown]
	v_addc_co_u32_e32 v91, vcc, v76, v91, vcc
	global_load_dwordx4 v[112:115], v124, s[8:9] offset:2912
	global_load_dwordx4 v[116:119], v[90:91], off offset:2848
	global_load_dwordx4 v[120:123], v[90:91], off offset:2928
                                        ; kill: killed $vgpr124
	s_nop 0
	global_load_dwordx4 v[124:127], v[90:91], off offset:2896
	global_load_dwordx4 v[128:131], v[90:91], off offset:2880
	;; [unrolled: 1-line block ×4, first 2 shown]
	s_mov_b32 s22, 0xe976ee23
	s_mov_b32 s23, 0xbfe11646
	;; [unrolled: 1-line block ×18, first 2 shown]
	v_mul_lo_u32 v76, s5, v94
	v_mul_lo_u32 v95, s4, v95
	v_mad_u64_u32 v[90:91], s[4:5], s4, v94, 0
	s_mov_b32 s4, 0x37c3f68c
	s_mov_b32 s5, 0x3fdc38aa
	v_add3_u32 v91, v91, v95, v76
	s_mov_b32 s29, 0x16c16c17
	s_movk_i32 s28, 0xb4
	s_waitcnt vmcnt(6) lgkmcnt(3)
	v_mul_f64 v[150:151], v[66:67], v[114:115]
	s_waitcnt vmcnt(5)
	v_mul_f64 v[152:153], v[60:61], v[118:119]
	s_waitcnt vmcnt(4) lgkmcnt(0)
	v_mul_f64 v[154:155], v[84:85], v[122:123]
	v_mul_f64 v[122:123], v[80:81], v[122:123]
	s_waitcnt vmcnt(3)
	v_mul_f64 v[156:157], v[64:65], v[126:127]
	s_waitcnt vmcnt(2)
	;; [unrolled: 2-line block ×4, first 2 shown]
	v_mul_f64 v[162:163], v[68:69], v[142:143]
	v_mul_f64 v[118:119], v[40:41], v[118:119]
	;; [unrolled: 1-line block ×6, first 2 shown]
	v_fma_f64 v[40:41], v[40:41], v[116:117], -v[152:153]
	v_fma_f64 v[80:81], v[80:81], v[120:121], -v[154:155]
	;; [unrolled: 1-line block ×6, first 2 shown]
	v_fma_f64 v[84:85], v[84:85], v[120:121], v[122:123]
	v_fma_f64 v[60:61], v[60:61], v[116:117], v[118:119]
	v_fma_f64 v[68:69], v[68:69], v[140:141], v[142:143]
	v_fma_f64 v[52:53], v[52:53], v[136:137], v[138:139]
	v_fma_f64 v[56:57], v[56:57], v[128:129], v[130:131]
	v_fma_f64 v[64:65], v[64:65], v[124:125], v[126:127]
	v_add_f64 v[116:117], v[40:41], -v[80:81]
	v_add_f64 v[118:119], v[44:45], -v[28:29]
	;; [unrolled: 1-line block ×3, first 2 shown]
	v_add_f64 v[122:123], v[60:61], v[84:85]
	v_add_f64 v[40:41], v[40:41], v[80:81]
	;; [unrolled: 1-line block ×6, first 2 shown]
	v_add_f64 v[36:37], v[60:61], -v[84:85]
	v_add_f64 v[44:45], v[64:65], -v[56:57]
	;; [unrolled: 1-line block ×5, first 2 shown]
	v_add_f64 v[64:65], v[118:119], v[120:121]
	v_add_f64 v[68:69], v[122:123], v[124:125]
	;; [unrolled: 1-line block ×3, first 2 shown]
	v_add_f64 v[84:85], v[122:123], -v[126:127]
	v_add_f64 v[80:81], v[126:127], -v[124:125]
	;; [unrolled: 1-line block ×6, first 2 shown]
	v_add_f64 v[44:45], v[44:45], v[52:53]
	v_add_f64 v[120:121], v[120:121], -v[116:117]
	v_add_f64 v[32:33], v[32:33], -v[40:41]
	;; [unrolled: 1-line block ×3, first 2 shown]
	v_mul_f64 v[52:53], v[60:61], s[22:23]
	v_add_f64 v[60:61], v[116:117], v[64:65]
	v_add_f64 v[64:65], v[126:127], v[68:69]
	;; [unrolled: 1-line block ×3, first 2 shown]
	v_add_f64 v[122:123], v[124:125], -v[122:123]
	v_mul_f64 v[68:69], v[84:85], s[26:27]
	v_mul_f64 v[116:117], v[80:81], s[20:21]
	;; [unrolled: 1-line block ×5, first 2 shown]
	v_add_f64 v[36:37], v[36:37], v[44:45]
	v_mul_f64 v[44:45], v[120:121], s[16:17]
	v_mul_f64 v[130:131], v[40:41], s[16:17]
	v_add_f64 v[80:81], v[82:83], v[64:65]
	v_add_f64 v[78:79], v[78:79], v[28:29]
	v_fma_f64 v[138:139], v[56:57], s[10:11], v[52:53]
	v_fma_f64 v[82:83], v[84:85], s[26:27], v[116:117]
	;; [unrolled: 1-line block ×4, first 2 shown]
	v_fma_f64 v[44:45], v[56:57], s[12:13], -v[44:45]
	v_fma_f64 v[56:57], v[122:123], s[18:19], -v[68:69]
	;; [unrolled: 1-line block ×6, first 2 shown]
	v_fma_f64 v[64:65], v[64:65], s[6:7], v[80:81]
	v_fma_f64 v[28:29], v[28:29], s[6:7], v[78:79]
	v_fma_f64 v[32:33], v[32:33], s[24:25], -v[124:125]
	v_fma_f64 v[40:41], v[40:41], s[16:17], -v[126:127]
	v_mul_f64 v[144:145], v[58:59], v[88:89]
	v_fma_f64 v[120:121], v[60:61], s[4:5], v[138:139]
	v_fma_f64 v[122:123], v[36:37], s[4:5], v[128:129]
	v_fma_f64 v[44:45], v[60:61], s[4:5], v[44:45]
	v_fma_f64 v[118:119], v[36:37], s[4:5], v[118:119]
	v_add_f64 v[124:125], v[82:83], v[64:65]
	v_add_f64 v[126:127], v[84:85], v[28:29]
	v_fma_f64 v[52:53], v[60:61], s[4:5], v[52:53]
	v_fma_f64 v[40:41], v[36:37], s[4:5], v[40:41]
	v_add_f64 v[56:57], v[56:57], v[64:65]
	v_add_f64 v[60:61], v[68:69], v[28:29]
	;; [unrolled: 1-line block ×4, first 2 shown]
	v_mul_f64 v[28:29], v[46:47], v[114:115]
	v_mul_f64 v[94:95], v[50:51], v[106:107]
	;; [unrolled: 1-line block ×8, first 2 shown]
	v_fma_f64 v[68:69], v[30:31], v[86:87], -v[144:145]
	v_fma_f64 v[66:67], v[66:67], v[112:113], v[28:29]
	v_mul_f64 v[28:29], v[38:39], v[98:99]
	v_mul_f64 v[30:31], v[30:31], v[88:89]
	v_fma_f64 v[70:71], v[70:71], v[108:109], v[110:111]
	v_fma_f64 v[50:51], v[50:51], v[104:105], v[106:107]
	;; [unrolled: 1-line block ×3, first 2 shown]
	v_fma_f64 v[102:103], v[38:39], v[96:97], -v[146:147]
	v_fma_f64 v[42:43], v[42:43], v[100:101], -v[148:149]
	;; [unrolled: 1-line block ×5, first 2 shown]
	v_fma_f64 v[54:55], v[54:55], v[96:97], v[28:29]
	v_fma_f64 v[58:59], v[58:59], v[86:87], v[30:31]
	v_add_f64 v[100:101], v[50:51], v[70:71]
	v_add_f64 v[104:105], v[62:63], v[66:67]
	v_add_f64 v[32:33], v[36:37], -v[52:53]
	v_add_f64 v[98:99], v[42:43], -v[46:47]
	v_add_f64 v[36:37], v[52:53], v[36:37]
	v_add_f64 v[52:53], v[38:39], v[88:89]
	v_add_f64 v[46:47], v[42:43], v[46:47]
	v_add_f64 v[108:109], v[58:59], v[54:55]
	v_add_f64 v[94:95], v[68:69], -v[102:103]
	v_add_f64 v[86:87], v[38:39], -v[88:89]
	v_add_f64 v[106:107], v[100:101], v[104:105]
	v_add_f64 v[28:29], v[44:45], v[56:57]
	v_add_f64 v[26:27], v[60:61], -v[118:119]
	v_add_f64 v[30:31], v[40:41], v[64:65]
	v_add_f64 v[34:35], v[64:65], -v[40:41]
	v_add_f64 v[40:41], v[56:57], -v[44:45]
	v_add_f64 v[38:39], v[118:119], v[60:61]
	v_add_f64 v[56:57], v[108:109], -v[104:105]
	v_add_f64 v[60:61], v[52:53], v[46:47]
	v_add_f64 v[68:69], v[68:69], v[102:103]
	v_add_f64 v[96:97], v[94:95], -v[98:99]
	v_add_f64 v[64:65], v[86:87], -v[94:95]
	v_add_f64 v[42:43], v[94:95], v[98:99]
	v_add_f64 v[94:95], v[108:109], v[106:107]
	v_add_f64 v[54:55], v[58:59], -v[54:55]
	v_add_f64 v[58:59], v[62:63], -v[66:67]
	v_add_f64 v[62:63], v[100:101], -v[108:109]
	v_mul_f64 v[56:57], v[56:57], s[20:21]
	v_add_f64 v[60:61], v[68:69], v[60:61]
	v_add_f64 v[50:51], v[50:51], -v[70:71]
	v_add_f64 v[66:67], v[68:69], -v[46:47]
	v_add_f64 v[44:45], v[48:49], v[94:95]
	v_add_f64 v[102:103], v[86:87], v[42:43]
	v_add_f64 v[70:71], v[54:55], -v[58:59]
	v_add_f64 v[86:87], v[98:99], -v[86:87]
	v_fma_f64 v[106:107], v[62:63], s[26:27], v[56:57]
	v_add_f64 v[42:43], v[24:25], v[60:61]
	v_mul_f64 v[24:25], v[62:63], s[26:27]
	v_add_f64 v[62:63], v[52:53], -v[68:69]
	v_add_f64 v[68:69], v[50:51], -v[54:55]
	v_add_f64 v[54:55], v[54:55], v[58:59]
	v_add_f64 v[58:59], v[58:59], -v[50:51]
	v_fma_f64 v[94:95], v[94:95], s[6:7], v[44:45]
	v_mul_f64 v[66:67], v[66:67], s[20:21]
	v_mul_f64 v[88:89], v[96:97], s[22:23]
	;; [unrolled: 1-line block ×3, first 2 shown]
	v_fma_f64 v[60:61], v[60:61], s[6:7], v[42:43]
	v_mul_f64 v[110:111], v[86:87], s[16:17]
	v_add_f64 v[50:51], v[50:51], v[54:55]
	v_mul_f64 v[54:55], v[58:59], s[16:17]
	v_add_f64 v[98:99], v[106:107], v[94:95]
	v_mul_f64 v[106:107], v[62:63], s[26:27]
	v_fma_f64 v[62:63], v[62:63], s[26:27], v[66:67]
	v_add_f64 v[100:101], v[104:105], -v[100:101]
	v_add_f64 v[104:105], v[46:47], -v[52:53]
	v_fma_f64 v[96:97], v[64:65], s[10:11], v[88:89]
	v_fma_f64 v[108:109], v[68:69], s[10:11], v[70:71]
	v_fma_f64 v[54:55], v[68:69], s[12:13], -v[54:55]
	v_fma_f64 v[68:69], v[86:87], s[16:17], -v[88:89]
	;; [unrolled: 1-line block ×3, first 2 shown]
	v_add_f64 v[112:113], v[62:63], v[60:61]
	v_fma_f64 v[62:63], v[64:65], s[12:13], -v[110:111]
	v_fma_f64 v[24:25], v[100:101], s[18:19], -v[24:25]
	;; [unrolled: 1-line block ×5, first 2 shown]
	v_fma_f64 v[70:71], v[50:51], s[4:5], v[54:55]
	v_lshrrev_b32_e32 v54, 2, v134
	v_mul_hi_u32 v54, v54, s29
	v_fma_f64 v[86:87], v[102:103], s[4:5], v[62:63]
	v_add_f64 v[24:25], v[24:25], v[94:95]
	v_add_f64 v[88:89], v[64:65], v[60:61]
	v_lshrrev_b32_e32 v54, 2, v54
	v_mul_lo_u32 v76, v54, s28
	v_add_f64 v[62:63], v[56:57], v[94:95]
	v_fma_f64 v[64:65], v[102:103], s[4:5], v[68:69]
	v_add_f64 v[66:67], v[66:67], v[60:61]
	v_fma_f64 v[68:69], v[50:51], s[4:5], v[58:59]
	v_sub_u32_e32 v76, v134, v76
	v_mad_u64_u32 v[94:95], s[30:31], s2, v76, 0
	v_add_f64 v[56:57], v[86:87], v[24:25]
	v_add_f64 v[54:55], v[88:89], -v[70:71]
	v_add_f64 v[60:61], v[62:63], -v[64:65]
	v_add_f64 v[64:65], v[64:65], v[62:63]
	v_add_f64 v[58:59], v[68:69], v[66:67]
	v_add_f64 v[62:63], v[66:67], -v[68:69]
	v_add_f64 v[68:69], v[24:25], -v[86:87]
	v_mov_b32_e32 v24, v95
	v_mad_u64_u32 v[24:25], s[30:31], s3, v76, v[24:25]
	v_add_f64 v[66:67], v[70:71], v[88:89]
	v_mov_b32_e32 v70, s15
	v_mov_b32_e32 v95, v24
	v_lshlrev_b64 v[24:25], 4, v[90:91]
	v_fma_f64 v[96:97], v[102:103], s[4:5], v[96:97]
	v_add_co_u32_e32 v90, vcc, s14, v24
	v_addc_co_u32_e32 v91, vcc, v70, v25, vcc
	v_lshlrev_b64 v[24:25], 4, v[92:93]
	v_add_u32_e32 v92, 0xb4, v76
	v_mad_u64_u32 v[70:71], s[14:15], s2, v92, 0
	v_fma_f64 v[106:107], v[50:51], s[4:5], v[108:109]
	v_add_co_u32_e32 v24, vcc, v90, v24
	v_mad_u64_u32 v[92:93], s[14:15], s3, v92, v[71:72]
	v_addc_co_u32_e32 v25, vcc, v91, v25, vcc
	v_lshlrev_b64 v[90:91], 4, v[94:95]
	v_add_f64 v[46:47], v[122:123], v[126:127]
	v_add_co_u32_e32 v90, vcc, v24, v90
	v_addc_co_u32_e32 v91, vcc, v25, v91, vcc
	v_mov_b32_e32 v71, v92
	global_store_dwordx4 v[90:91], v[42:45], off
	v_add_f64 v[88:89], v[98:99], -v[96:97]
	v_lshlrev_b64 v[42:43], 4, v[70:71]
	v_add_u32_e32 v70, 0x168, v76
	v_mad_u64_u32 v[44:45], s[14:15], s2, v70, 0
	v_add_f64 v[86:87], v[106:107], v[112:113]
	v_add_co_u32_e32 v42, vcc, v24, v42
	v_mad_u64_u32 v[70:71], s[14:15], s3, v70, v[45:46]
	v_add_u32_e32 v71, 0x21c, v76
	v_mad_u64_u32 v[90:91], s[14:15], s2, v71, 0
	v_addc_co_u32_e32 v43, vcc, v25, v43, vcc
	v_mov_b32_e32 v45, v70
	global_store_dwordx4 v[42:43], v[86:89], off
	v_lshlrev_b64 v[42:43], 4, v[44:45]
	v_mov_b32_e32 v44, v91
	v_mad_u64_u32 v[44:45], s[14:15], s3, v71, v[44:45]
	v_add_co_u32_e32 v42, vcc, v24, v42
	v_addc_co_u32_e32 v43, vcc, v25, v43, vcc
	global_store_dwordx4 v[42:43], v[66:69], off
	v_mov_b32_e32 v91, v44
	v_add_u32_e32 v66, 0x2d0, v76
	v_mad_u64_u32 v[44:45], s[14:15], s2, v66, 0
	v_add_u32_e32 v69, 0x384, v76
	v_lshlrev_b64 v[42:43], 4, v[90:91]
	v_mad_u64_u32 v[66:67], s[14:15], s3, v66, v[45:46]
	v_mad_u64_u32 v[67:68], s[14:15], s2, v69, 0
	v_add_co_u32_e32 v42, vcc, v24, v42
	v_addc_co_u32_e32 v43, vcc, v25, v43, vcc
	v_mov_b32_e32 v45, v66
	global_store_dwordx4 v[42:43], v[62:65], off
	v_lshlrev_b64 v[42:43], 4, v[44:45]
	v_mov_b32_e32 v44, v68
	v_mad_u64_u32 v[44:45], s[14:15], s3, v69, v[44:45]
	v_add_co_u32_e32 v42, vcc, v24, v42
	v_addc_co_u32_e32 v43, vcc, v25, v43, vcc
	global_store_dwordx4 v[42:43], v[58:61], off
	v_mov_b32_e32 v68, v44
	v_add_u32_e32 v58, 63, v134
	v_lshrrev_b32_e32 v44, 2, v58
	v_mul_hi_u32 v59, v44, s29
	v_add_u32_e32 v60, 0x438, v76
	v_mad_u64_u32 v[44:45], s[14:15], s2, v60, 0
	v_lshrrev_b32_e32 v59, 2, v59
	v_mul_lo_u32 v61, v59, s28
	s_movk_i32 s14, 0x4ec
	v_add_f64 v[52:53], v[96:97], v[98:99]
	v_add_f64 v[50:51], v[112:113], -v[106:107]
	v_sub_u32_e32 v58, v58, v61
	v_mad_u64_u32 v[58:59], s[14:15], v59, s14, v[58:59]
	v_mad_u64_u32 v[59:60], s[14:15], s3, v60, v[45:46]
	v_lshlrev_b64 v[42:43], 4, v[67:68]
	v_mad_u64_u32 v[60:61], s[14:15], s2, v58, 0
	v_add_co_u32_e32 v42, vcc, v24, v42
	v_addc_co_u32_e32 v43, vcc, v25, v43, vcc
	v_mov_b32_e32 v45, v59
	global_store_dwordx4 v[42:43], v[54:57], off
	v_lshlrev_b64 v[42:43], 4, v[44:45]
	v_mov_b32_e32 v44, v61
	v_mad_u64_u32 v[44:45], s[14:15], s3, v58, v[44:45]
	v_add_co_u32_e32 v42, vcc, v24, v42
	v_addc_co_u32_e32 v43, vcc, v25, v43, vcc
	global_store_dwordx4 v[42:43], v[50:53], off
	v_mov_b32_e32 v61, v44
	v_add_u32_e32 v50, 0xb4, v58
	v_mad_u64_u32 v[44:45], s[14:15], s2, v50, 0
	v_add_u32_e32 v53, 0x168, v58
	v_add_f64 v[48:49], v[124:125], -v[120:121]
	v_mad_u64_u32 v[50:51], s[14:15], s3, v50, v[45:46]
	v_lshlrev_b64 v[42:43], 4, v[60:61]
	v_mad_u64_u32 v[51:52], s[14:15], s2, v53, 0
	v_add_co_u32_e32 v42, vcc, v24, v42
	v_addc_co_u32_e32 v43, vcc, v25, v43, vcc
	v_mov_b32_e32 v45, v50
	global_store_dwordx4 v[42:43], v[78:81], off
	v_lshlrev_b64 v[42:43], 4, v[44:45]
	v_mov_b32_e32 v44, v52
	v_mad_u64_u32 v[44:45], s[14:15], s3, v53, v[44:45]
	v_add_co_u32_e32 v42, vcc, v24, v42
	v_addc_co_u32_e32 v43, vcc, v25, v43, vcc
	global_store_dwordx4 v[42:43], v[46:49], off
	v_mov_b32_e32 v52, v44
	v_add_u32_e32 v46, 0x21c, v58
	v_mad_u64_u32 v[44:45], s[14:15], s2, v46, 0
	v_lshlrev_b64 v[42:43], 4, v[51:52]
	v_add_u32_e32 v48, 0x2d0, v58
	v_mad_u64_u32 v[45:46], s[14:15], s3, v46, v[45:46]
	v_add_co_u32_e32 v42, vcc, v24, v42
	v_addc_co_u32_e32 v43, vcc, v25, v43, vcc
	v_mad_u64_u32 v[46:47], s[14:15], s2, v48, 0
	global_store_dwordx4 v[42:43], v[38:41], off
	v_add_f64 v[84:85], v[120:121], v[124:125]
	v_lshlrev_b64 v[38:39], 4, v[44:45]
	v_mov_b32_e32 v40, v47
	v_add_co_u32_e32 v38, vcc, v24, v38
	v_addc_co_u32_e32 v39, vcc, v25, v39, vcc
	global_store_dwordx4 v[38:39], v[34:37], off
	v_add_u32_e32 v38, 0x384, v58
	v_mad_u64_u32 v[40:41], s[14:15], s3, v48, v[40:41]
	v_mad_u64_u32 v[36:37], s[14:15], s2, v38, 0
	v_mov_b32_e32 v47, v40
	v_add_u32_e32 v40, 0x438, v58
	v_mad_u64_u32 v[37:38], s[14:15], s3, v38, v[37:38]
	v_lshlrev_b64 v[34:35], 4, v[46:47]
	v_mad_u64_u32 v[38:39], s[14:15], s2, v40, 0
	v_add_co_u32_e32 v34, vcc, v24, v34
	v_addc_co_u32_e32 v35, vcc, v25, v35, vcc
	global_store_dwordx4 v[34:35], v[30:33], off
	v_add_f64 v[82:83], v[126:127], -v[122:123]
	v_mov_b32_e32 v32, v39
	v_mad_u64_u32 v[32:33], s[14:15], s3, v40, v[32:33]
	v_lshlrev_b64 v[30:31], 4, v[36:37]
	v_add_co_u32_e32 v30, vcc, v24, v30
	v_addc_co_u32_e32 v31, vcc, v25, v31, vcc
	v_mov_b32_e32 v39, v32
	global_store_dwordx4 v[30:31], v[26:29], off
	s_nop 0
	v_lshlrev_b64 v[26:27], 4, v[38:39]
	v_add_co_u32_e32 v26, vcc, v24, v26
	v_addc_co_u32_e32 v27, vcc, v25, v27, vcc
	global_store_dwordx4 v[26:27], v[82:85], off
	v_add_u32_e32 v26, 0x7e, v134
	v_cmp_gt_u32_e32 vcc, s28, v26
	s_and_b64 exec, exec, vcc
	s_cbranch_execz .LBB0_36
; %bb.35:
	v_subrev_u32_e32 v27, 54, v134
	v_cndmask_b32_e64 v27, v27, v135, s[0:1]
	v_mul_i32_i24_e32 v76, 6, v27
	v_lshlrev_b64 v[27:28], 4, v[76:77]
	v_mov_b32_e32 v29, s9
	v_add_co_u32_e32 v51, vcc, s8, v27
	v_addc_co_u32_e32 v52, vcc, v29, v28, vcc
	global_load_dwordx4 v[27:30], v[51:52], off offset:2848
	global_load_dwordx4 v[31:34], v[51:52], off offset:2864
	;; [unrolled: 1-line block ×6, first 2 shown]
	v_add_u32_e32 v61, 0x132, v134
	v_mad_u64_u32 v[51:52], s[0:1], s2, v26, 0
	v_add_u32_e32 v62, 0x1e6, v134
	v_mad_u64_u32 v[53:54], s[0:1], s2, v61, 0
	v_mad_u64_u32 v[55:56], s[0:1], s2, v62, 0
	;; [unrolled: 1-line block ×3, first 2 shown]
	v_mov_b32_e32 v26, v54
	v_mov_b32_e32 v52, v56
	v_add_u32_e32 v71, 0x29a, v134
	v_mad_u64_u32 v[57:58], s[0:1], s2, v71, 0
	s_waitcnt vmcnt(5)
	v_mad_u64_u32 v[60:61], s[0:1], s3, v61, v[26:27]
	v_mad_u64_u32 v[61:62], s[0:1], s3, v62, v[52:53]
	v_mov_b32_e32 v52, v59
	v_mov_b32_e32 v54, v60
	;; [unrolled: 1-line block ×3, first 2 shown]
	v_mul_f64 v[59:60], v[20:21], v[29:30]
	v_mul_f64 v[29:30], v[12:13], v[29:30]
	s_waitcnt vmcnt(4)
	v_mul_f64 v[61:62], v[22:23], v[33:34]
	v_mul_f64 v[33:34], v[14:15], v[33:34]
	s_waitcnt vmcnt(1)
	;; [unrolled: 3-line block ×3, first 2 shown]
	v_mul_f64 v[69:70], v[4:5], v[49:50]
	v_mul_f64 v[49:50], v[0:1], v[49:50]
	;; [unrolled: 1-line block ×6, first 2 shown]
	v_fma_f64 v[12:13], v[12:13], v[27:28], -v[59:60]
	v_fma_f64 v[20:21], v[20:21], v[27:28], v[29:30]
	v_fma_f64 v[14:15], v[14:15], v[31:32], -v[61:62]
	v_fma_f64 v[22:23], v[22:23], v[31:32], v[33:34]
	;; [unrolled: 2-line block ×6, first 2 shown]
	v_add_f64 v[26:27], v[12:13], v[2:3]
	v_add_f64 v[28:29], v[20:21], v[6:7]
	v_add_f64 v[2:3], v[12:13], -v[2:3]
	v_add_f64 v[6:7], v[20:21], -v[6:7]
	v_add_f64 v[12:13], v[14:15], v[0:1]
	v_add_f64 v[20:21], v[22:23], v[4:5]
	v_add_f64 v[0:1], v[14:15], -v[0:1]
	v_add_f64 v[4:5], v[22:23], -v[4:5]
	;; [unrolled: 4-line block ×4, first 2 shown]
	v_add_f64 v[26:27], v[26:27], -v[14:15]
	v_add_f64 v[28:29], v[28:29], -v[22:23]
	;; [unrolled: 1-line block ×4, first 2 shown]
	v_add_f64 v[34:35], v[8:9], v[0:1]
	v_add_f64 v[36:37], v[10:11], v[4:5]
	v_add_f64 v[38:39], v[8:9], -v[0:1]
	v_add_f64 v[40:41], v[10:11], -v[4:5]
	v_add_f64 v[14:15], v[14:15], v[16:17]
	v_add_f64 v[16:17], v[22:23], v[18:19]
	v_add_f64 v[42:43], v[0:1], -v[2:3]
	v_add_f64 v[4:5], v[4:5], -v[6:7]
	v_add_f64 v[8:9], v[2:3], -v[8:9]
	v_add_f64 v[10:11], v[6:7], -v[10:11]
	v_add_f64 v[18:19], v[34:35], v[2:3]
	v_add_f64 v[6:7], v[36:37], v[6:7]
	v_mul_f64 v[22:23], v[26:27], s[26:27]
	v_mul_f64 v[26:27], v[28:29], s[26:27]
	;; [unrolled: 1-line block ×6, first 2 shown]
	v_add_f64 v[0:1], v[72:73], v[14:15]
	v_add_f64 v[2:3], v[74:75], v[16:17]
	v_mul_f64 v[40:41], v[42:43], s[16:17]
	v_mul_f64 v[44:45], v[4:5], s[16:17]
	v_fma_f64 v[12:13], v[12:13], s[20:21], v[22:23]
	v_fma_f64 v[20:21], v[20:21], s[20:21], v[26:27]
	v_fma_f64 v[28:29], v[30:31], s[24:25], -v[28:29]
	v_fma_f64 v[34:35], v[32:33], s[24:25], -v[34:35]
	;; [unrolled: 1-line block ×4, first 2 shown]
	v_fma_f64 v[30:31], v[8:9], s[10:11], v[36:37]
	v_fma_f64 v[32:33], v[10:11], s[10:11], v[38:39]
	;; [unrolled: 1-line block ×4, first 2 shown]
	v_fma_f64 v[36:37], v[42:43], s[16:17], -v[36:37]
	v_fma_f64 v[8:9], v[8:9], s[12:13], -v[40:41]
	;; [unrolled: 1-line block ×4, first 2 shown]
	v_fma_f64 v[30:31], v[18:19], s[4:5], v[30:31]
	v_fma_f64 v[32:33], v[6:7], s[4:5], v[32:33]
	v_add_f64 v[42:43], v[12:13], v[14:15]
	v_add_f64 v[44:45], v[20:21], v[16:17]
	v_lshlrev_b64 v[51:52], 4, v[51:52]
	v_fma_f64 v[36:37], v[18:19], s[4:5], v[36:37]
	v_add_co_u32_e32 v51, vcc, v24, v51
	v_addc_co_u32_e32 v52, vcc, v25, v52, vcc
	v_fma_f64 v[18:19], v[18:19], s[4:5], v[8:9]
	v_fma_f64 v[40:41], v[6:7], s[4:5], v[10:11]
	v_add_f64 v[22:23], v[22:23], v[14:15]
	v_add_f64 v[26:27], v[26:27], v[16:17]
	global_store_dwordx4 v[51:52], v[0:3], off
	v_fma_f64 v[38:39], v[6:7], s[4:5], v[4:5]
	v_add_f64 v[0:1], v[32:33], v[42:43]
	v_add_f64 v[2:3], v[44:45], -v[30:31]
	v_add_f64 v[12:13], v[28:29], v[14:15]
	v_add_f64 v[20:21], v[34:35], v[16:17]
	v_lshlrev_b64 v[53:54], 4, v[53:54]
	v_add_f64 v[4:5], v[40:41], v[22:23]
	v_add_co_u32_e32 v53, vcc, v24, v53
	v_addc_co_u32_e32 v54, vcc, v25, v54, vcc
	v_add_f64 v[6:7], v[26:27], -v[18:19]
	global_store_dwordx4 v[53:54], v[0:3], off
	v_add_f64 v[18:19], v[18:19], v[26:27]
	v_mov_b32_e32 v0, v58
	v_mad_u64_u32 v[0:1], s[0:1], s3, v71, v[0:1]
	v_add_u32_e32 v26, 0x34e, v134
	v_mad_u64_u32 v[1:2], s[0:1], s2, v26, 0
	v_lshlrev_b64 v[55:56], 4, v[55:56]
	v_add_f64 v[8:9], v[12:13], -v[38:39]
	v_add_f64 v[10:11], v[36:37], v[20:21]
	v_add_co_u32_e32 v28, vcc, v24, v55
	v_addc_co_u32_e32 v29, vcc, v25, v56, vcc
	v_mov_b32_e32 v58, v0
	v_mov_b32_e32 v0, v2
	global_store_dwordx4 v[28:29], v[4:7], off
	v_add_f64 v[12:13], v[38:39], v[12:13]
	v_lshlrev_b64 v[3:4], 4, v[57:58]
	v_mad_u64_u32 v[5:6], s[0:1], s3, v26, v[0:1]
	v_add_co_u32_e32 v2, vcc, v24, v3
	v_addc_co_u32_e32 v3, vcc, v25, v4, vcc
	global_store_dwordx4 v[2:3], v[8:11], off
	v_mov_b32_e32 v2, v5
	v_add_u32_e32 v4, 0x402, v134
	v_lshlrev_b64 v[0:1], 4, v[1:2]
	v_mad_u64_u32 v[2:3], s[0:1], s2, v4, 0
	v_add_f64 v[14:15], v[20:21], -v[36:37]
	v_add_u32_e32 v6, 0x4b6, v134
	v_mad_u64_u32 v[3:4], s[0:1], s3, v4, v[3:4]
	v_mad_u64_u32 v[4:5], s[0:1], s2, v6, 0
	v_add_f64 v[16:17], v[22:23], -v[40:41]
	v_add_co_u32_e32 v0, vcc, v24, v0
	v_addc_co_u32_e32 v1, vcc, v25, v1, vcc
	global_store_dwordx4 v[0:1], v[12:15], off
	v_lshlrev_b64 v[0:1], 4, v[2:3]
	v_mov_b32_e32 v2, v5
	v_mad_u64_u32 v[2:3], s[0:1], s3, v6, v[2:3]
	v_add_f64 v[20:21], v[42:43], -v[32:33]
	v_add_f64 v[22:23], v[30:31], v[44:45]
	v_add_co_u32_e32 v0, vcc, v24, v0
	v_addc_co_u32_e32 v1, vcc, v25, v1, vcc
	v_mov_b32_e32 v5, v2
	global_store_dwordx4 v[0:1], v[16:19], off
	v_lshlrev_b64 v[0:1], 4, v[4:5]
	v_add_co_u32_e32 v0, vcc, v24, v0
	v_addc_co_u32_e32 v1, vcc, v25, v1, vcc
	global_store_dwordx4 v[0:1], v[20:23], off
.LBB0_36:
	s_endpgm
	.section	.rodata,"a",@progbits
	.p2align	6, 0x0
	.amdhsa_kernel fft_rtc_fwd_len1260_factors_2_2_3_3_5_7_wgs_63_tpt_63_halfLds_dp_op_CI_CI_sbrr_dirReg
		.amdhsa_group_segment_fixed_size 0
		.amdhsa_private_segment_fixed_size 0
		.amdhsa_kernarg_size 104
		.amdhsa_user_sgpr_count 6
		.amdhsa_user_sgpr_private_segment_buffer 1
		.amdhsa_user_sgpr_dispatch_ptr 0
		.amdhsa_user_sgpr_queue_ptr 0
		.amdhsa_user_sgpr_kernarg_segment_ptr 1
		.amdhsa_user_sgpr_dispatch_id 0
		.amdhsa_user_sgpr_flat_scratch_init 0
		.amdhsa_user_sgpr_private_segment_size 0
		.amdhsa_uses_dynamic_stack 0
		.amdhsa_system_sgpr_private_segment_wavefront_offset 0
		.amdhsa_system_sgpr_workgroup_id_x 1
		.amdhsa_system_sgpr_workgroup_id_y 0
		.amdhsa_system_sgpr_workgroup_id_z 0
		.amdhsa_system_sgpr_workgroup_info 0
		.amdhsa_system_vgpr_workitem_id 0
		.amdhsa_next_free_vgpr 204
		.amdhsa_next_free_sgpr 32
		.amdhsa_reserve_vcc 1
		.amdhsa_reserve_flat_scratch 0
		.amdhsa_float_round_mode_32 0
		.amdhsa_float_round_mode_16_64 0
		.amdhsa_float_denorm_mode_32 3
		.amdhsa_float_denorm_mode_16_64 3
		.amdhsa_dx10_clamp 1
		.amdhsa_ieee_mode 1
		.amdhsa_fp16_overflow 0
		.amdhsa_exception_fp_ieee_invalid_op 0
		.amdhsa_exception_fp_denorm_src 0
		.amdhsa_exception_fp_ieee_div_zero 0
		.amdhsa_exception_fp_ieee_overflow 0
		.amdhsa_exception_fp_ieee_underflow 0
		.amdhsa_exception_fp_ieee_inexact 0
		.amdhsa_exception_int_div_zero 0
	.end_amdhsa_kernel
	.text
.Lfunc_end0:
	.size	fft_rtc_fwd_len1260_factors_2_2_3_3_5_7_wgs_63_tpt_63_halfLds_dp_op_CI_CI_sbrr_dirReg, .Lfunc_end0-fft_rtc_fwd_len1260_factors_2_2_3_3_5_7_wgs_63_tpt_63_halfLds_dp_op_CI_CI_sbrr_dirReg
                                        ; -- End function
	.section	.AMDGPU.csdata,"",@progbits
; Kernel info:
; codeLenInByte = 17296
; NumSgprs: 36
; NumVgprs: 204
; ScratchSize: 0
; MemoryBound: 1
; FloatMode: 240
; IeeeMode: 1
; LDSByteSize: 0 bytes/workgroup (compile time only)
; SGPRBlocks: 4
; VGPRBlocks: 50
; NumSGPRsForWavesPerEU: 36
; NumVGPRsForWavesPerEU: 204
; Occupancy: 1
; WaveLimiterHint : 1
; COMPUTE_PGM_RSRC2:SCRATCH_EN: 0
; COMPUTE_PGM_RSRC2:USER_SGPR: 6
; COMPUTE_PGM_RSRC2:TRAP_HANDLER: 0
; COMPUTE_PGM_RSRC2:TGID_X_EN: 1
; COMPUTE_PGM_RSRC2:TGID_Y_EN: 0
; COMPUTE_PGM_RSRC2:TGID_Z_EN: 0
; COMPUTE_PGM_RSRC2:TIDIG_COMP_CNT: 0
	.type	__hip_cuid_69d89287863d4b5e,@object ; @__hip_cuid_69d89287863d4b5e
	.section	.bss,"aw",@nobits
	.globl	__hip_cuid_69d89287863d4b5e
__hip_cuid_69d89287863d4b5e:
	.byte	0                               ; 0x0
	.size	__hip_cuid_69d89287863d4b5e, 1

	.ident	"AMD clang version 19.0.0git (https://github.com/RadeonOpenCompute/llvm-project roc-6.4.0 25133 c7fe45cf4b819c5991fe208aaa96edf142730f1d)"
	.section	".note.GNU-stack","",@progbits
	.addrsig
	.addrsig_sym __hip_cuid_69d89287863d4b5e
	.amdgpu_metadata
---
amdhsa.kernels:
  - .args:
      - .actual_access:  read_only
        .address_space:  global
        .offset:         0
        .size:           8
        .value_kind:     global_buffer
      - .offset:         8
        .size:           8
        .value_kind:     by_value
      - .actual_access:  read_only
        .address_space:  global
        .offset:         16
        .size:           8
        .value_kind:     global_buffer
      - .actual_access:  read_only
        .address_space:  global
        .offset:         24
        .size:           8
        .value_kind:     global_buffer
      - .actual_access:  read_only
        .address_space:  global
        .offset:         32
        .size:           8
        .value_kind:     global_buffer
      - .offset:         40
        .size:           8
        .value_kind:     by_value
      - .actual_access:  read_only
        .address_space:  global
        .offset:         48
        .size:           8
        .value_kind:     global_buffer
      - .actual_access:  read_only
        .address_space:  global
        .offset:         56
        .size:           8
        .value_kind:     global_buffer
      - .offset:         64
        .size:           4
        .value_kind:     by_value
      - .actual_access:  read_only
        .address_space:  global
        .offset:         72
        .size:           8
        .value_kind:     global_buffer
      - .actual_access:  read_only
        .address_space:  global
        .offset:         80
        .size:           8
        .value_kind:     global_buffer
      - .actual_access:  read_only
        .address_space:  global
        .offset:         88
        .size:           8
        .value_kind:     global_buffer
      - .actual_access:  write_only
        .address_space:  global
        .offset:         96
        .size:           8
        .value_kind:     global_buffer
    .group_segment_fixed_size: 0
    .kernarg_segment_align: 8
    .kernarg_segment_size: 104
    .language:       OpenCL C
    .language_version:
      - 2
      - 0
    .max_flat_workgroup_size: 63
    .name:           fft_rtc_fwd_len1260_factors_2_2_3_3_5_7_wgs_63_tpt_63_halfLds_dp_op_CI_CI_sbrr_dirReg
    .private_segment_fixed_size: 0
    .sgpr_count:     36
    .sgpr_spill_count: 0
    .symbol:         fft_rtc_fwd_len1260_factors_2_2_3_3_5_7_wgs_63_tpt_63_halfLds_dp_op_CI_CI_sbrr_dirReg.kd
    .uniform_work_group_size: 1
    .uses_dynamic_stack: false
    .vgpr_count:     204
    .vgpr_spill_count: 0
    .wavefront_size: 64
amdhsa.target:   amdgcn-amd-amdhsa--gfx906
amdhsa.version:
  - 1
  - 2
...

	.end_amdgpu_metadata
